;; amdgpu-corpus repo=ROCm/rocFFT kind=compiled arch=gfx1201 opt=O3
	.text
	.amdgcn_target "amdgcn-amd-amdhsa--gfx1201"
	.amdhsa_code_object_version 6
	.protected	fft_rtc_fwd_len1001_factors_13_7_11_wgs_182_tpt_91_halfLds_dp_op_CI_CI_unitstride_sbrr_dirReg ; -- Begin function fft_rtc_fwd_len1001_factors_13_7_11_wgs_182_tpt_91_halfLds_dp_op_CI_CI_unitstride_sbrr_dirReg
	.globl	fft_rtc_fwd_len1001_factors_13_7_11_wgs_182_tpt_91_halfLds_dp_op_CI_CI_unitstride_sbrr_dirReg
	.p2align	8
	.type	fft_rtc_fwd_len1001_factors_13_7_11_wgs_182_tpt_91_halfLds_dp_op_CI_CI_unitstride_sbrr_dirReg,@function
fft_rtc_fwd_len1001_factors_13_7_11_wgs_182_tpt_91_halfLds_dp_op_CI_CI_unitstride_sbrr_dirReg: ; @fft_rtc_fwd_len1001_factors_13_7_11_wgs_182_tpt_91_halfLds_dp_op_CI_CI_unitstride_sbrr_dirReg
; %bb.0:
	s_clause 0x2
	s_load_b128 s[8:11], s[0:1], 0x0
	s_load_b128 s[4:7], s[0:1], 0x58
	;; [unrolled: 1-line block ×3, first 2 shown]
	v_mul_u32_u24_e32 v1, 0x2d1, v0
	v_mov_b32_e32 v52, 0
	v_mov_b32_e32 v53, 0
	s_delay_alu instid0(VALU_DEP_3) | instskip(SKIP_1) | instid1(VALU_DEP_2)
	v_lshrrev_b32_e32 v154, 16, v1
	v_mov_b32_e32 v1, 0
	v_lshl_add_u32 v3, ttmp9, 1, v154
	s_delay_alu instid0(VALU_DEP_2) | instskip(SKIP_2) | instid1(VALU_DEP_1)
	v_mov_b32_e32 v4, v1
	s_wait_kmcnt 0x0
	v_cmp_lt_u64_e64 s2, s[10:11], 2
	s_and_b32 vcc_lo, exec_lo, s2
	s_cbranch_vccnz .LBB0_8
; %bb.1:
	s_load_b64 s[2:3], s[0:1], 0x10
	v_mov_b32_e32 v52, 0
	v_mov_b32_e32 v53, 0
	s_add_nc_u64 s[16:17], s[14:15], 8
	s_add_nc_u64 s[18:19], s[12:13], 8
	s_mov_b64 s[20:21], 1
	s_delay_alu instid0(VALU_DEP_1)
	v_dual_mov_b32 v69, v53 :: v_dual_mov_b32 v68, v52
	s_wait_kmcnt 0x0
	s_add_nc_u64 s[22:23], s[2:3], 8
	s_mov_b32 s3, 0
.LBB0_2:                                ; =>This Inner Loop Header: Depth=1
	s_load_b64 s[24:25], s[22:23], 0x0
                                        ; implicit-def: $vgpr70_vgpr71
	s_mov_b32 s2, exec_lo
	s_wait_kmcnt 0x0
	v_or_b32_e32 v2, s25, v4
	s_delay_alu instid0(VALU_DEP_1)
	v_cmpx_ne_u64_e32 0, v[1:2]
	s_wait_alu 0xfffe
	s_xor_b32 s26, exec_lo, s2
	s_cbranch_execz .LBB0_4
; %bb.3:                                ;   in Loop: Header=BB0_2 Depth=1
	s_cvt_f32_u32 s2, s24
	s_cvt_f32_u32 s27, s25
	s_sub_nc_u64 s[30:31], 0, s[24:25]
	s_wait_alu 0xfffe
	s_delay_alu instid0(SALU_CYCLE_1) | instskip(SKIP_1) | instid1(SALU_CYCLE_2)
	s_fmamk_f32 s2, s27, 0x4f800000, s2
	s_wait_alu 0xfffe
	v_s_rcp_f32 s2, s2
	s_delay_alu instid0(TRANS32_DEP_1) | instskip(SKIP_1) | instid1(SALU_CYCLE_2)
	s_mul_f32 s2, s2, 0x5f7ffffc
	s_wait_alu 0xfffe
	s_mul_f32 s27, s2, 0x2f800000
	s_wait_alu 0xfffe
	s_delay_alu instid0(SALU_CYCLE_2) | instskip(SKIP_1) | instid1(SALU_CYCLE_2)
	s_trunc_f32 s27, s27
	s_wait_alu 0xfffe
	s_fmamk_f32 s2, s27, 0xcf800000, s2
	s_cvt_u32_f32 s29, s27
	s_wait_alu 0xfffe
	s_delay_alu instid0(SALU_CYCLE_1) | instskip(SKIP_1) | instid1(SALU_CYCLE_2)
	s_cvt_u32_f32 s28, s2
	s_wait_alu 0xfffe
	s_mul_u64 s[34:35], s[30:31], s[28:29]
	s_wait_alu 0xfffe
	s_mul_hi_u32 s37, s28, s35
	s_mul_i32 s36, s28, s35
	s_mul_hi_u32 s2, s28, s34
	s_mul_i32 s33, s29, s34
	s_wait_alu 0xfffe
	s_add_nc_u64 s[36:37], s[2:3], s[36:37]
	s_mul_hi_u32 s27, s29, s34
	s_mul_hi_u32 s38, s29, s35
	s_add_co_u32 s2, s36, s33
	s_wait_alu 0xfffe
	s_add_co_ci_u32 s2, s37, s27
	s_mul_i32 s34, s29, s35
	s_add_co_ci_u32 s35, s38, 0
	s_wait_alu 0xfffe
	s_add_nc_u64 s[34:35], s[2:3], s[34:35]
	s_wait_alu 0xfffe
	v_add_co_u32 v2, s2, s28, s34
	s_delay_alu instid0(VALU_DEP_1) | instskip(SKIP_1) | instid1(VALU_DEP_1)
	s_cmp_lg_u32 s2, 0
	s_add_co_ci_u32 s29, s29, s35
	v_readfirstlane_b32 s28, v2
	s_wait_alu 0xfffe
	s_delay_alu instid0(VALU_DEP_1)
	s_mul_u64 s[30:31], s[30:31], s[28:29]
	s_wait_alu 0xfffe
	s_mul_hi_u32 s35, s28, s31
	s_mul_i32 s34, s28, s31
	s_mul_hi_u32 s2, s28, s30
	s_mul_i32 s33, s29, s30
	s_wait_alu 0xfffe
	s_add_nc_u64 s[34:35], s[2:3], s[34:35]
	s_mul_hi_u32 s27, s29, s30
	s_mul_hi_u32 s28, s29, s31
	s_wait_alu 0xfffe
	s_add_co_u32 s2, s34, s33
	s_add_co_ci_u32 s2, s35, s27
	s_mul_i32 s30, s29, s31
	s_add_co_ci_u32 s31, s28, 0
	s_wait_alu 0xfffe
	s_add_nc_u64 s[30:31], s[2:3], s[30:31]
	s_wait_alu 0xfffe
	v_add_co_u32 v2, s2, v2, s30
	s_delay_alu instid0(VALU_DEP_1) | instskip(SKIP_1) | instid1(VALU_DEP_1)
	s_cmp_lg_u32 s2, 0
	s_add_co_ci_u32 s2, s29, s31
	v_mul_hi_u32 v11, v3, v2
	s_wait_alu 0xfffe
	v_mad_co_u64_u32 v[5:6], null, v3, s2, 0
	v_mad_co_u64_u32 v[7:8], null, v4, v2, 0
	;; [unrolled: 1-line block ×3, first 2 shown]
	s_delay_alu instid0(VALU_DEP_3) | instskip(SKIP_1) | instid1(VALU_DEP_4)
	v_add_co_u32 v2, vcc_lo, v11, v5
	s_wait_alu 0xfffd
	v_add_co_ci_u32_e32 v5, vcc_lo, 0, v6, vcc_lo
	s_delay_alu instid0(VALU_DEP_2) | instskip(SKIP_1) | instid1(VALU_DEP_2)
	v_add_co_u32 v2, vcc_lo, v2, v7
	s_wait_alu 0xfffd
	v_add_co_ci_u32_e32 v2, vcc_lo, v5, v8, vcc_lo
	s_wait_alu 0xfffd
	v_add_co_ci_u32_e32 v5, vcc_lo, 0, v10, vcc_lo
	s_delay_alu instid0(VALU_DEP_2) | instskip(SKIP_1) | instid1(VALU_DEP_2)
	v_add_co_u32 v2, vcc_lo, v2, v9
	s_wait_alu 0xfffd
	v_add_co_ci_u32_e32 v7, vcc_lo, 0, v5, vcc_lo
	s_delay_alu instid0(VALU_DEP_2) | instskip(SKIP_1) | instid1(VALU_DEP_3)
	v_mul_lo_u32 v8, s25, v2
	v_mad_co_u64_u32 v[5:6], null, s24, v2, 0
	v_mul_lo_u32 v9, s24, v7
	s_delay_alu instid0(VALU_DEP_2) | instskip(NEXT) | instid1(VALU_DEP_2)
	v_sub_co_u32 v5, vcc_lo, v3, v5
	v_add3_u32 v6, v6, v9, v8
	s_delay_alu instid0(VALU_DEP_1) | instskip(SKIP_1) | instid1(VALU_DEP_1)
	v_sub_nc_u32_e32 v8, v4, v6
	s_wait_alu 0xfffd
	v_subrev_co_ci_u32_e64 v8, s2, s25, v8, vcc_lo
	v_add_co_u32 v9, s2, v2, 2
	s_wait_alu 0xf1ff
	v_add_co_ci_u32_e64 v10, s2, 0, v7, s2
	v_sub_co_u32 v11, s2, v5, s24
	v_sub_co_ci_u32_e32 v6, vcc_lo, v4, v6, vcc_lo
	s_wait_alu 0xf1ff
	v_subrev_co_ci_u32_e64 v8, s2, 0, v8, s2
	s_delay_alu instid0(VALU_DEP_3) | instskip(NEXT) | instid1(VALU_DEP_3)
	v_cmp_le_u32_e32 vcc_lo, s24, v11
	v_cmp_eq_u32_e64 s2, s25, v6
	s_wait_alu 0xfffd
	v_cndmask_b32_e64 v11, 0, -1, vcc_lo
	v_cmp_le_u32_e32 vcc_lo, s25, v8
	s_wait_alu 0xfffd
	v_cndmask_b32_e64 v12, 0, -1, vcc_lo
	v_cmp_le_u32_e32 vcc_lo, s24, v5
	;; [unrolled: 3-line block ×3, first 2 shown]
	s_wait_alu 0xfffd
	v_cndmask_b32_e64 v13, 0, -1, vcc_lo
	v_cmp_eq_u32_e32 vcc_lo, s25, v8
	s_wait_alu 0xf1ff
	s_delay_alu instid0(VALU_DEP_2)
	v_cndmask_b32_e64 v5, v13, v5, s2
	s_wait_alu 0xfffd
	v_cndmask_b32_e32 v8, v12, v11, vcc_lo
	v_add_co_u32 v11, vcc_lo, v2, 1
	s_wait_alu 0xfffd
	v_add_co_ci_u32_e32 v12, vcc_lo, 0, v7, vcc_lo
	s_delay_alu instid0(VALU_DEP_3) | instskip(SKIP_1) | instid1(VALU_DEP_2)
	v_cmp_ne_u32_e32 vcc_lo, 0, v8
	s_wait_alu 0xfffd
	v_cndmask_b32_e32 v6, v12, v10, vcc_lo
	v_cndmask_b32_e32 v8, v11, v9, vcc_lo
	v_cmp_ne_u32_e32 vcc_lo, 0, v5
	s_wait_alu 0xfffd
	s_delay_alu instid0(VALU_DEP_2)
	v_dual_cndmask_b32 v71, v7, v6 :: v_dual_cndmask_b32 v70, v2, v8
.LBB0_4:                                ;   in Loop: Header=BB0_2 Depth=1
	s_wait_alu 0xfffe
	s_and_not1_saveexec_b32 s2, s26
	s_cbranch_execz .LBB0_6
; %bb.5:                                ;   in Loop: Header=BB0_2 Depth=1
	v_cvt_f32_u32_e32 v2, s24
	s_sub_co_i32 s26, 0, s24
	v_mov_b32_e32 v71, v1
	s_delay_alu instid0(VALU_DEP_2) | instskip(NEXT) | instid1(TRANS32_DEP_1)
	v_rcp_iflag_f32_e32 v2, v2
	v_mul_f32_e32 v2, 0x4f7ffffe, v2
	s_delay_alu instid0(VALU_DEP_1) | instskip(SKIP_1) | instid1(VALU_DEP_1)
	v_cvt_u32_f32_e32 v2, v2
	s_wait_alu 0xfffe
	v_mul_lo_u32 v5, s26, v2
	s_delay_alu instid0(VALU_DEP_1) | instskip(NEXT) | instid1(VALU_DEP_1)
	v_mul_hi_u32 v5, v2, v5
	v_add_nc_u32_e32 v2, v2, v5
	s_delay_alu instid0(VALU_DEP_1) | instskip(NEXT) | instid1(VALU_DEP_1)
	v_mul_hi_u32 v2, v3, v2
	v_mul_lo_u32 v5, v2, s24
	v_add_nc_u32_e32 v6, 1, v2
	s_delay_alu instid0(VALU_DEP_2) | instskip(NEXT) | instid1(VALU_DEP_1)
	v_sub_nc_u32_e32 v5, v3, v5
	v_subrev_nc_u32_e32 v7, s24, v5
	v_cmp_le_u32_e32 vcc_lo, s24, v5
	s_wait_alu 0xfffd
	s_delay_alu instid0(VALU_DEP_2) | instskip(NEXT) | instid1(VALU_DEP_1)
	v_dual_cndmask_b32 v5, v5, v7 :: v_dual_cndmask_b32 v2, v2, v6
	v_cmp_le_u32_e32 vcc_lo, s24, v5
	s_delay_alu instid0(VALU_DEP_2) | instskip(SKIP_1) | instid1(VALU_DEP_1)
	v_add_nc_u32_e32 v6, 1, v2
	s_wait_alu 0xfffd
	v_cndmask_b32_e32 v70, v2, v6, vcc_lo
.LBB0_6:                                ;   in Loop: Header=BB0_2 Depth=1
	s_wait_alu 0xfffe
	s_or_b32 exec_lo, exec_lo, s2
	v_mul_lo_u32 v2, v71, s24
	s_delay_alu instid0(VALU_DEP_2)
	v_mul_lo_u32 v7, v70, s25
	s_load_b64 s[26:27], s[18:19], 0x0
	v_mad_co_u64_u32 v[5:6], null, v70, s24, 0
	s_load_b64 s[24:25], s[16:17], 0x0
	s_add_nc_u64 s[20:21], s[20:21], 1
	s_add_nc_u64 s[16:17], s[16:17], 8
	s_wait_alu 0xfffe
	v_cmp_ge_u64_e64 s2, s[20:21], s[10:11]
	s_add_nc_u64 s[18:19], s[18:19], 8
	s_add_nc_u64 s[22:23], s[22:23], 8
	v_add3_u32 v2, v6, v7, v2
	v_sub_co_u32 v3, vcc_lo, v3, v5
	s_wait_alu 0xfffd
	s_delay_alu instid0(VALU_DEP_2) | instskip(SKIP_2) | instid1(VALU_DEP_1)
	v_sub_co_ci_u32_e32 v2, vcc_lo, v4, v2, vcc_lo
	s_and_b32 vcc_lo, exec_lo, s2
	s_wait_kmcnt 0x0
	v_mul_lo_u32 v4, s26, v2
	v_mul_lo_u32 v5, s27, v3
	v_mad_co_u64_u32 v[52:53], null, s26, v3, v[52:53]
	v_mul_lo_u32 v2, s24, v2
	v_mul_lo_u32 v6, s25, v3
	v_mad_co_u64_u32 v[68:69], null, s24, v3, v[68:69]
	s_delay_alu instid0(VALU_DEP_4) | instskip(NEXT) | instid1(VALU_DEP_2)
	v_add3_u32 v53, v5, v53, v4
	v_add3_u32 v69, v6, v69, v2
	s_wait_alu 0xfffe
	s_cbranch_vccnz .LBB0_9
; %bb.7:                                ;   in Loop: Header=BB0_2 Depth=1
	v_dual_mov_b32 v3, v70 :: v_dual_mov_b32 v4, v71
	s_branch .LBB0_2
.LBB0_8:
	v_dual_mov_b32 v69, v53 :: v_dual_mov_b32 v68, v52
	v_dual_mov_b32 v71, v4 :: v_dual_mov_b32 v70, v3
.LBB0_9:
	s_load_b64 s[0:1], s[0:1], 0x28
	s_lshl_b64 s[10:11], s[10:11], 3
	v_mul_hi_u32 v1, 0x2d02d03, v0
	s_wait_alu 0xfffe
	s_add_nc_u64 s[2:3], s[14:15], s[10:11]
	v_mov_b32_e32 v72, 0
	s_load_b64 s[2:3], s[2:3], 0x0
                                        ; implicit-def: $vgpr10_vgpr11
                                        ; implicit-def: $vgpr6_vgpr7
                                        ; implicit-def: $vgpr14_vgpr15
                                        ; implicit-def: $vgpr18_vgpr19
                                        ; implicit-def: $vgpr22_vgpr23
                                        ; implicit-def: $vgpr30_vgpr31
                                        ; implicit-def: $vgpr38_vgpr39
                                        ; implicit-def: $vgpr50_vgpr51
                                        ; implicit-def: $vgpr46_vgpr47
                                        ; implicit-def: $vgpr42_vgpr43
                                        ; implicit-def: $vgpr34_vgpr35
                                        ; implicit-def: $vgpr26_vgpr27
                                        ; implicit-def: $vgpr2_vgpr3
	s_delay_alu instid0(VALU_DEP_2) | instskip(NEXT) | instid1(VALU_DEP_1)
	v_mul_u32_u24_e32 v1, 0x5b, v1
	v_sub_nc_u32_e32 v73, v0, v1
	s_wait_kmcnt 0x0
	v_cmp_gt_u64_e32 vcc_lo, s[0:1], v[70:71]
	s_and_saveexec_b32 s1, vcc_lo
	s_cbranch_execz .LBB0_13
; %bb.10:
	s_mov_b32 s14, exec_lo
                                        ; implicit-def: $vgpr0_vgpr1
                                        ; implicit-def: $vgpr24_vgpr25
                                        ; implicit-def: $vgpr32_vgpr33
                                        ; implicit-def: $vgpr40_vgpr41
                                        ; implicit-def: $vgpr44_vgpr45
                                        ; implicit-def: $vgpr48_vgpr49
                                        ; implicit-def: $vgpr36_vgpr37
                                        ; implicit-def: $vgpr28_vgpr29
                                        ; implicit-def: $vgpr20_vgpr21
                                        ; implicit-def: $vgpr16_vgpr17
                                        ; implicit-def: $vgpr12_vgpr13
                                        ; implicit-def: $vgpr4_vgpr5
                                        ; implicit-def: $vgpr8_vgpr9
	v_cmpx_gt_u32_e32 0x4d, v73
	s_cbranch_execz .LBB0_12
; %bb.11:
	s_add_nc_u64 s[10:11], s[12:13], s[10:11]
	v_mov_b32_e32 v74, 0
	s_load_b64 s[10:11], s[10:11], 0x0
	s_wait_kmcnt 0x0
	v_mul_lo_u32 v2, s11, v70
	v_mul_lo_u32 v3, s10, v71
	v_mad_co_u64_u32 v[0:1], null, s10, v70, 0
	s_delay_alu instid0(VALU_DEP_1) | instskip(SKIP_1) | instid1(VALU_DEP_2)
	v_add3_u32 v1, v1, v3, v2
	v_lshlrev_b64_e32 v[2:3], 4, v[52:53]
	v_lshlrev_b64_e32 v[0:1], 4, v[0:1]
	s_delay_alu instid0(VALU_DEP_1) | instskip(SKIP_1) | instid1(VALU_DEP_2)
	v_add_co_u32 v4, s0, s4, v0
	s_wait_alu 0xf1ff
	v_add_co_ci_u32_e64 v5, s0, s5, v1, s0
	v_lshlrev_b64_e32 v[0:1], 4, v[73:74]
	s_delay_alu instid0(VALU_DEP_3) | instskip(SKIP_1) | instid1(VALU_DEP_3)
	v_add_co_u32 v2, s0, v4, v2
	s_wait_alu 0xf1ff
	v_add_co_ci_u32_e64 v3, s0, v5, v3, s0
	s_delay_alu instid0(VALU_DEP_2) | instskip(SKIP_1) | instid1(VALU_DEP_2)
	v_add_co_u32 v8, s0, v2, v0
	s_wait_alu 0xf1ff
	v_add_co_ci_u32_e64 v9, s0, v3, v1, s0
	s_clause 0xc
	global_load_b128 v[0:3], v[8:9], off
	global_load_b128 v[24:27], v[8:9], off offset:1232
	global_load_b128 v[32:35], v[8:9], off offset:2464
	;; [unrolled: 1-line block ×12, first 2 shown]
.LBB0_12:
	s_or_b32 exec_lo, exec_lo, s14
	v_mov_b32_e32 v72, v73
.LBB0_13:
	s_wait_alu 0xfffe
	s_or_b32 exec_lo, exec_lo, s1
	s_wait_loadcnt 0x0
	v_add_f64_e32 v[52:53], v[8:9], v[24:25]
	s_mov_b32 s0, 0xe00740e9
	s_mov_b32 s38, 0x1ea71119
	;; [unrolled: 1-line block ×12, first 2 shown]
	v_add_f64_e64 v[56:57], v[26:27], -v[10:11]
	v_add_f64_e32 v[54:55], v[4:5], v[32:33]
	s_mov_b32 s24, 0x4267c47c
	s_mov_b32 s14, 0x42a4c3d2
	;; [unrolled: 1-line block ×12, first 2 shown]
	v_add_f64_e64 v[94:95], v[34:35], -v[6:7]
	s_mov_b32 s23, 0x3fe5384d
	s_mov_b32 s17, 0x3fefc445
	;; [unrolled: 1-line block ×3, first 2 shown]
	s_wait_alu 0xfffe
	s_mov_b32 s22, s10
	s_mov_b32 s16, s20
	;; [unrolled: 1-line block ×3, first 2 shown]
	v_add_f64_e64 v[102:103], v[42:43], -v[14:15]
	v_add_f64_e32 v[124:125], v[16:17], v[44:45]
	s_mov_b32 s29, 0x3fedeba7
	s_mov_b32 s28, s4
	v_mul_f64_e32 v[58:59], s[38:39], v[52:53]
	v_mul_f64_e32 v[60:61], s[34:35], v[52:53]
	;; [unrolled: 1-line block ×6, first 2 shown]
	v_add_f64_e32 v[52:53], v[12:13], v[40:41]
	v_add_f64_e32 v[138:139], v[20:21], v[48:49]
	s_mov_b32 s31, 0x3fcea1e5
	s_mov_b32 s27, 0x3fea55e2
	;; [unrolled: 1-line block ×4, first 2 shown]
	v_add_f64_e32 v[155:156], v[28:29], v[36:37]
	v_and_b32_e32 v154, 1, v154
	v_mul_f64_e32 v[66:67], s[38:39], v[54:55]
	v_mul_f64_e32 v[84:85], s[40:41], v[54:55]
	;; [unrolled: 1-line block ×9, first 2 shown]
	v_fma_f64 v[54:55], v[56:57], s[14:15], v[58:59]
	v_fma_f64 v[74:75], v[56:57], s[20:21], v[60:61]
	;; [unrolled: 1-line block ×6, first 2 shown]
	v_mul_f64_e32 v[98:99], s[34:35], v[52:53]
	v_mul_f64_e32 v[100:101], s[36:37], v[52:53]
	;; [unrolled: 1-line block ×8, first 2 shown]
	v_fma_f64 v[52:53], v[94:95], s[14:15], v[66:67]
	v_fma_f64 v[126:127], v[94:95], s[4:5], v[84:85]
	;; [unrolled: 1-line block ×6, first 2 shown]
	v_mul_f64_e32 v[124:125], s[38:39], v[124:125]
	v_mul_f64_e32 v[152:153], s[34:35], v[155:156]
	v_add_f64_e32 v[54:55], v[0:1], v[54:55]
	v_add_f64_e32 v[74:75], v[0:1], v[74:75]
	;; [unrolled: 1-line block ×6, first 2 shown]
	v_add_f64_e64 v[112:113], v[46:47], -v[18:19]
	v_fma_f64 v[140:141], v[102:103], s[20:21], v[98:99]
	v_fma_f64 v[142:143], v[102:103], s[12:13], v[100:101]
	s_wait_alu 0xfffe
	v_fma_f64 v[144:145], v[102:103], s[28:29], v[104:105]
	v_fma_f64 v[146:147], v[102:103], s[18:19], v[106:107]
	;; [unrolled: 1-line block ×4, first 2 shown]
	v_add_f64_e32 v[54:55], v[126:127], v[54:55]
	v_add_f64_e32 v[74:75], v[128:129], v[74:75]
	;; [unrolled: 1-line block ×6, first 2 shown]
	v_add_f64_e64 v[130:131], v[50:51], -v[22:23]
	v_mul_f64_e32 v[126:127], s[42:43], v[138:139]
	v_mul_f64_e32 v[128:129], s[34:35], v[138:139]
	;; [unrolled: 1-line block ×6, first 2 shown]
	v_fma_f64 v[157:158], v[112:113], s[4:5], v[114:115]
	v_fma_f64 v[159:160], v[112:113], s[22:23], v[116:117]
	;; [unrolled: 1-line block ×6, first 2 shown]
	v_add_f64_e32 v[54:55], v[142:143], v[54:55]
	v_add_f64_e32 v[74:75], v[144:145], v[74:75]
	v_add_f64_e32 v[76:77], v[146:147], v[76:77]
	v_add_f64_e32 v[78:79], v[148:149], v[78:79]
	v_add_f64_e32 v[80:81], v[150:151], v[80:81]
	v_add_f64_e32 v[52:53], v[140:141], v[52:53]
	v_add_f64_e64 v[148:149], v[38:39], -v[30:31]
	v_mul_f64_e32 v[140:141], s[0:1], v[155:156]
	v_mul_f64_e32 v[142:143], s[42:43], v[155:156]
	;; [unrolled: 1-line block ×5, first 2 shown]
	v_fma_f64 v[155:156], v[130:131], s[10:11], v[126:127]
	v_fma_f64 v[169:170], v[130:131], s[16:17], v[128:129]
	;; [unrolled: 1-line block ×6, first 2 shown]
	v_cmp_eq_u32_e64 s0, 1, v154
	v_cmp_gt_u32_e64 s1, 0x4d, v73
	s_wait_alu 0xf1ff
	s_delay_alu instid0(VALU_DEP_2)
	v_cndmask_b32_e64 v154, 0, 0x3e9, s0
	v_add_f64_e32 v[54:55], v[159:160], v[54:55]
	v_add_f64_e32 v[74:75], v[161:162], v[74:75]
	;; [unrolled: 1-line block ×6, first 2 shown]
	v_fma_f64 v[165:166], v[148:149], s[16:17], v[152:153]
	v_fma_f64 v[157:158], v[148:149], s[18:19], v[140:141]
	;; [unrolled: 1-line block ×6, first 2 shown]
	v_add_f64_e32 v[54:55], v[169:170], v[54:55]
	v_add_f64_e32 v[169:170], v[171:172], v[74:75]
	v_add_f64_e32 v[171:172], v[173:174], v[76:77]
	v_add_f64_e32 v[173:174], v[175:176], v[78:79]
	v_add_f64_e32 v[175:176], v[177:178], v[80:81]
	v_add_f64_e32 v[155:156], v[155:156], v[52:53]
	v_add_f64_e32 v[74:75], v[157:158], v[54:55]
	v_add_f64_e32 v[76:77], v[159:160], v[169:170]
	v_add_f64_e32 v[78:79], v[161:162], v[171:172]
	v_add_f64_e32 v[80:81], v[163:164], v[173:174]
	v_add_f64_e32 v[52:53], v[165:166], v[175:176]
	v_add_f64_e32 v[54:55], v[167:168], v[155:156]
	v_lshlrev_b32_e32 v156, 3, v154
	s_and_saveexec_b32 s0, s1
	s_cbranch_execz .LBB0_15
; %bb.14:
	v_add_f64_e32 v[154:155], v[24:25], v[0:1]
	v_mul_f64_e32 v[159:160], s[10:11], v[56:57]
	v_mul_f64_e32 v[161:162], s[4:5], v[56:57]
	;; [unrolled: 1-line block ×12, first 2 shown]
	v_add_f64_e32 v[154:155], v[32:33], v[154:155]
	v_add_f64_e64 v[64:65], v[64:65], -v[159:160]
	v_add_f64_e64 v[62:63], v[62:63], -v[161:162]
	;; [unrolled: 1-line block ×6, first 2 shown]
	v_mul_f64_e32 v[157:158], s[14:15], v[102:103]
	v_mul_f64_e32 v[159:160], s[18:19], v[102:103]
	v_add_f64_e64 v[92:93], v[92:93], -v[169:170]
	v_add_f64_e64 v[90:91], v[90:91], -v[171:172]
	v_mul_f64_e32 v[58:59], s[10:11], v[102:103]
	v_add_f64_e64 v[96:97], v[96:97], -v[167:168]
	v_mul_f64_e32 v[163:164], s[20:21], v[102:103]
	;; [unrolled: 2-line block ×3, first 2 shown]
	v_mul_f64_e32 v[102:103], s[12:13], v[102:103]
	v_add_f64_e64 v[88:89], v[88:89], -v[173:174]
	v_add_f64_e64 v[84:85], v[84:85], -v[175:176]
	v_mul_f64_e32 v[165:166], s[30:31], v[112:113]
	v_mul_f64_e32 v[169:170], s[20:21], v[112:113]
	;; [unrolled: 1-line block ×3, first 2 shown]
	v_add_f64_e32 v[154:155], v[40:41], v[154:155]
	v_add_f64_e32 v[64:65], v[0:1], v[64:65]
	;; [unrolled: 1-line block ×7, first 2 shown]
	v_add_f64_e64 v[108:109], v[108:109], -v[157:158]
	v_add_f64_e64 v[106:107], v[106:107], -v[159:160]
	v_mul_f64_e32 v[56:57], s[4:5], v[112:113]
	v_add_f64_e64 v[58:59], v[110:111], -v[58:59]
	v_add_f64_e64 v[98:99], v[98:99], -v[163:164]
	;; [unrolled: 1-line block ×7, first 2 shown]
	v_add_f64_e32 v[154:155], v[44:45], v[154:155]
	v_add_f64_e32 v[64:65], v[92:93], v[64:65]
	;; [unrolled: 1-line block ×7, first 2 shown]
	v_mul_f64_e32 v[92:93], s[30:31], v[130:131]
	v_mul_f64_e32 v[96:97], s[4:5], v[130:131]
	;; [unrolled: 1-line block ×3, first 2 shown]
	v_add_f64_e64 v[56:57], v[114:115], -v[56:57]
	v_mul_f64_e32 v[88:89], s[16:17], v[130:131]
	v_mul_f64_e32 v[90:91], s[14:15], v[130:131]
	v_add_f64_e32 v[154:155], v[48:49], v[154:155]
	v_add_f64_e32 v[64:65], v[108:109], v[64:65]
	;; [unrolled: 1-line block ×7, first 2 shown]
	v_mul_f64_e32 v[104:105], s[26:27], v[148:149]
	v_mul_f64_e32 v[106:107], s[4:5], v[148:149]
	v_add_f64_e64 v[92:93], v[134:135], -v[92:93]
	v_mul_f64_e32 v[108:109], s[16:17], v[148:149]
	v_add_f64_e64 v[96:97], v[138:139], -v[96:97]
	;; [unrolled: 2-line block ×3, first 2 shown]
	v_mul_f64_e32 v[98:99], s[18:19], v[148:149]
	v_mul_f64_e32 v[100:101], s[10:11], v[148:149]
	v_add_f64_e64 v[90:91], v[132:133], -v[90:91]
	v_add_f64_e64 v[88:89], v[128:129], -v[88:89]
	v_add_f64_e32 v[154:155], v[36:37], v[154:155]
	v_add_f64_e32 v[64:65], v[110:111], v[64:65]
	;; [unrolled: 1-line block ×5, first 2 shown]
	v_add_f64_e64 v[104:105], v[144:145], -v[104:105]
	v_add_f64_e64 v[102:103], v[146:147], -v[106:107]
	;; [unrolled: 1-line block ×5, first 2 shown]
	v_add_f64_e32 v[94:95], v[28:29], v[154:155]
	v_mul_f64_e32 v[154:155], s[22:23], v[112:113]
	v_mul_f64_e32 v[112:113], s[18:19], v[112:113]
	v_add_f64_e32 v[62:63], v[92:93], v[62:63]
	v_add_f64_e32 v[58:59], v[96:97], v[58:59]
	;; [unrolled: 1-line block ×4, first 2 shown]
	v_mul_f64_e32 v[94:95], s[18:19], v[130:131]
	v_add_f64_e64 v[112:113], v[118:119], -v[112:113]
	v_add_f64_e64 v[116:117], v[116:117], -v[154:155]
	v_add_f64_e32 v[62:63], v[104:105], v[62:63]
	v_add_f64_e32 v[56:57], v[86:87], v[56:57]
	;; [unrolled: 1-line block ×3, first 2 shown]
	v_add_f64_e64 v[94:95], v[136:137], -v[94:95]
	v_add_f64_e32 v[60:61], v[112:113], v[60:61]
	v_add_f64_e32 v[0:1], v[116:117], v[0:1]
	s_delay_alu instid0(VALU_DEP_4) | instskip(NEXT) | instid1(VALU_DEP_4)
	v_add_f64_e32 v[66:67], v[12:13], v[82:83]
	v_add_f64_e32 v[64:65], v[94:95], v[64:65]
	v_add_f64_e64 v[82:83], v[152:153], -v[108:109]
	v_add_f64_e32 v[60:61], v[90:91], v[60:61]
	v_add_f64_e32 v[0:1], v[88:89], v[0:1]
	;; [unrolled: 1-line block ×7, first 2 shown]
	v_mul_u32_u24_e32 v82, 0x68, v73
	s_delay_alu instid0(VALU_DEP_1)
	v_add3_u32 v82, 0, v82, v156
	v_add_f64_e32 v[66:67], v[8:9], v[66:67]
	ds_store_2addr_b64 v82, v[80:81], v[78:79] offset0:8 offset1:9
	ds_store_2addr_b64 v82, v[76:77], v[74:75] offset0:10 offset1:11
	;; [unrolled: 1-line block ×4, first 2 shown]
	ds_store_2addr_b64 v82, v[66:67], v[56:57] offset1:1
	ds_store_2addr_b64 v82, v[0:1], v[60:61] offset0:2 offset1:3
	ds_store_b64 v82, v[54:55] offset:96
.LBB0_15:
	s_wait_alu 0xfffe
	s_or_b32 exec_lo, exec_lo, s0
	v_lshlrev_b32_e32 v0, 3, v73
	global_wb scope:SCOPE_SE
	s_wait_dscnt 0x0
	s_barrier_signal -1
	s_barrier_wait -1
	global_inv scope:SCOPE_SE
	v_add_nc_u32_e32 v159, 0, v0
	v_add3_u32 v157, 0, v156, v0
	v_cmp_gt_u32_e64 s0, 52, v73
	s_delay_alu instid0(VALU_DEP_3) | instskip(NEXT) | instid1(VALU_DEP_1)
	v_add_nc_u32_e32 v158, v159, v156
	v_add_nc_u32_e32 v0, 0x400, v158
	;; [unrolled: 1-line block ×4, first 2 shown]
	ds_load_b64 v[82:83], v157
	ds_load_2addr_b64 v[60:63], v0 offset0:15 offset1:158
	ds_load_2addr_b64 v[56:59], v1 offset0:45 offset1:188
	ds_load_2addr_b64 v[64:67], v84 offset0:75 offset1:218
                                        ; implicit-def: $vgpr0_vgpr1
	s_and_saveexec_b32 s4, s0
	s_cbranch_execz .LBB0_17
; %bb.16:
	v_add_nc_u32_e32 v0, 0xa00, v158
	ds_load_2addr_b64 v[52:55], v84 offset0:23 offset1:166
	ds_load_2addr_b64 v[84:87], v158 offset0:91 offset1:234
	;; [unrolled: 1-line block ×3, first 2 shown]
	ds_load_b64 v[0:1], v158 offset:7592
	s_wait_dscnt 0x3
	v_dual_mov_b32 v75, v53 :: v_dual_mov_b32 v74, v52
	s_wait_dscnt 0x2
	v_mov_b32_e32 v80, v86
	s_wait_dscnt 0x1
	v_mov_b32_e32 v76, v90
	v_mov_b32_e32 v78, v88
	v_dual_mov_b32 v52, v84 :: v_dual_mov_b32 v53, v85
	v_mov_b32_e32 v81, v87
	v_mov_b32_e32 v77, v91
	;; [unrolled: 1-line block ×3, first 2 shown]
.LBB0_17:
	s_wait_alu 0xfffe
	s_or_b32 exec_lo, exec_lo, s4
	v_add_f64_e64 v[24:25], v[24:25], -v[8:9]
	s_mov_b32 s24, 0x42a4c3d2
	s_mov_b32 s30, 0x66966769
	;; [unrolled: 1-line block ×12, first 2 shown]
	v_add_f64_e32 v[8:9], v[10:11], v[26:27]
	v_add_f64_e64 v[4:5], v[32:33], -v[4:5]
	s_mov_b32 s12, 0xe00740e9
	s_mov_b32 s10, 0x1ea71119
	;; [unrolled: 1-line block ×14, first 2 shown]
	s_wait_alu 0xfffe
	s_mov_b32 s36, s26
	s_mov_b32 s34, s30
	;; [unrolled: 1-line block ×4, first 2 shown]
	v_add_f64_e32 v[108:109], v[14:15], v[42:43]
	v_add_f64_e64 v[124:125], v[44:45], -v[16:17]
	s_mov_b32 s41, 0x3fcea1e5
	s_mov_b32 s40, s28
	v_add_f64_e64 v[20:21], v[48:49], -v[20:21]
	v_mul_f64_e32 v[88:89], s[24:25], v[24:25]
	v_mul_f64_e32 v[84:85], s[30:31], v[24:25]
	;; [unrolled: 1-line block ×6, first 2 shown]
	s_mov_b32 s21, 0x3fddbe06
	v_add_f64_e64 v[24:25], v[40:41], -v[12:13]
	v_add_f64_e32 v[12:13], v[6:7], v[34:35]
	v_add_f64_e64 v[28:29], v[36:37], -v[28:29]
	global_wb scope:SCOPE_SE
	s_wait_dscnt 0x0
	s_barrier_signal -1
	s_barrier_wait -1
	global_inv scope:SCOPE_SE
	v_mul_f64_e32 v[102:103], s[24:25], v[4:5]
	v_mul_f64_e32 v[98:99], s[22:23], v[4:5]
	v_mul_f64_e32 v[96:97], s[28:29], v[4:5]
	s_wait_alu 0xfffe
	v_mul_f64_e32 v[40:41], s[36:37], v[4:5]
	v_mul_f64_e32 v[100:101], s[34:35], v[4:5]
	;; [unrolled: 1-line block ×6, first 2 shown]
	v_fma_f64 v[4:5], v[8:9], s[10:11], -v[88:89]
	v_fma_f64 v[32:33], v[8:9], s[4:5], -v[84:85]
	;; [unrolled: 1-line block ×6, first 2 shown]
	v_mul_f64_e32 v[104:105], s[30:31], v[24:25]
	v_mul_f64_e32 v[44:45], s[28:29], v[24:25]
	;; [unrolled: 1-line block ×6, first 2 shown]
	s_mov_b32 s39, 0x3fea55e2
	v_fma_f64 v[24:25], v[12:13], s[10:11], -v[102:103]
	v_fma_f64 v[128:129], v[12:13], s[14:15], -v[98:99]
	;; [unrolled: 1-line block ×6, first 2 shown]
	s_mov_b32 s38, s24
	s_wait_alu 0xfffe
	v_mul_f64_e32 v[48:49], s[38:39], v[124:125]
	v_add_f64_e32 v[4:5], v[2:3], v[4:5]
	v_add_f64_e32 v[32:33], v[2:3], v[32:33]
	;; [unrolled: 1-line block ×7, first 2 shown]
	v_mul_f64_e32 v[120:121], s[30:31], v[124:125]
	v_mul_f64_e32 v[118:119], s[40:41], v[124:125]
	v_fma_f64 v[148:149], v[108:109], s[4:5], -v[104:105]
	v_fma_f64 v[150:151], v[108:109], s[18:19], -v[44:45]
	;; [unrolled: 1-line block ×6, first 2 shown]
	v_mul_f64_e32 v[124:125], s[24:25], v[20:21]
	v_add_f64_e32 v[4:5], v[128:129], v[4:5]
	v_add_f64_e32 v[32:33], v[132:133], v[32:33]
	;; [unrolled: 1-line block ×7, first 2 shown]
	v_mul_f64_e32 v[132:133], s[26:27], v[20:21]
	v_mul_f64_e32 v[128:129], s[34:35], v[20:21]
	v_mul_f64_e32 v[122:123], s[40:41], v[20:21]
	v_mul_f64_e32 v[136:137], s[22:23], v[20:21]
	v_mul_f64_e32 v[138:139], s[20:21], v[20:21]
	v_fma_f64 v[20:21], v[116:117], s[14:15], -v[130:131]
	v_fma_f64 v[36:37], v[116:117], s[16:17], -v[126:127]
	;; [unrolled: 1-line block ×6, first 2 shown]
	v_add_f64_e32 v[4:5], v[150:151], v[4:5]
	v_add_f64_e32 v[32:33], v[152:153], v[32:33]
	;; [unrolled: 1-line block ×7, first 2 shown]
	v_mul_f64_e32 v[144:145], s[26:27], v[28:29]
	v_mul_f64_e32 v[150:151], s[28:29], v[28:29]
	;; [unrolled: 1-line block ×6, first 2 shown]
	v_fma_f64 v[28:29], v[140:141], s[16:17], -v[132:133]
	v_fma_f64 v[174:175], v[140:141], s[4:5], -v[128:129]
	;; [unrolled: 1-line block ×6, first 2 shown]
	v_add_f64_e32 v[4:5], v[36:37], v[4:5]
	v_add_f64_e32 v[32:33], v[170:171], v[32:33]
	;; [unrolled: 1-line block ×6, first 2 shown]
	v_fma_f64 v[162:163], v[152:153], s[16:17], -v[144:145]
	v_fma_f64 v[164:165], v[152:153], s[18:19], -v[150:151]
	;; [unrolled: 1-line block ×6, first 2 shown]
	v_add_f64_e32 v[4:5], v[174:175], v[4:5]
	v_add_f64_e32 v[32:33], v[176:177], v[32:33]
	;; [unrolled: 1-line block ×12, first 2 shown]
	s_and_saveexec_b32 s20, s1
	s_cbranch_execz .LBB0_19
; %bb.18:
	v_add_f64_e32 v[26:27], v[26:27], v[2:3]
	v_mul_f64_e32 v[160:161], s[16:17], v[8:9]
	v_mul_f64_e32 v[162:163], s[18:19], v[8:9]
	;; [unrolled: 1-line block ×6, first 2 shown]
	v_add_f64_e32 v[26:27], v[34:35], v[26:27]
	v_mul_f64_e32 v[34:35], s[12:13], v[8:9]
	v_add_f64_e32 v[98:99], v[164:165], v[98:99]
	v_add_f64_e32 v[40:41], v[168:169], v[40:41]
	;; [unrolled: 1-line block ×5, first 2 shown]
	v_mul_f64_e32 v[42:43], s[10:11], v[8:9]
	v_add_f64_e32 v[34:35], v[34:35], v[90:91]
	v_mul_f64_e32 v[90:91], s[14:15], v[108:109]
	s_delay_alu instid0(VALU_DEP_4)
	v_add_f64_e32 v[26:27], v[46:47], v[26:27]
	v_mul_f64_e32 v[46:47], s[14:15], v[8:9]
	v_mul_f64_e32 v[8:9], s[4:5], v[8:9]
	v_add_f64_e32 v[42:43], v[42:43], v[88:89]
	v_add_f64_e32 v[88:89], v[162:163], v[94:95]
	v_mul_f64_e32 v[94:95], s[10:11], v[108:109]
	v_add_f64_e32 v[34:35], v[2:3], v[34:35]
	v_add_f64_e32 v[16:17], v[90:91], v[16:17]
	;; [unrolled: 1-line block ×3, first 2 shown]
	v_mul_f64_e32 v[50:51], s[10:11], v[12:13]
	v_add_f64_e32 v[46:47], v[46:47], v[86:87]
	v_add_f64_e32 v[86:87], v[160:161], v[92:93]
	v_mul_f64_e32 v[12:13], s[12:13], v[12:13]
	v_add_f64_e32 v[8:9], v[8:9], v[84:85]
	v_mul_f64_e32 v[84:85], s[18:19], v[108:109]
	v_mul_f64_e32 v[92:93], s[12:13], v[108:109]
	v_add_f64_e32 v[42:43], v[2:3], v[42:43]
	v_add_f64_e32 v[88:89], v[2:3], v[88:89]
	v_mul_f64_e32 v[160:161], s[18:19], v[116:117]
	v_add_f64_e32 v[90:91], v[94:95], v[112:113]
	v_mul_f64_e32 v[94:95], s[12:13], v[140:141]
	;; [unrolled: 2-line block ×3, first 2 shown]
	v_add_f64_e32 v[50:51], v[50:51], v[102:103]
	v_add_f64_e32 v[46:47], v[2:3], v[46:47]
	;; [unrolled: 1-line block ×3, first 2 shown]
	v_mul_f64_e32 v[108:109], s[16:17], v[108:109]
	v_add_f64_e32 v[12:13], v[12:13], v[106:107]
	v_add_f64_e32 v[2:3], v[2:3], v[8:9]
	v_mul_f64_e32 v[8:9], s[14:15], v[116:117]
	v_mul_f64_e32 v[102:103], s[12:13], v[116:117]
	;; [unrolled: 1-line block ×3, first 2 shown]
	v_add_f64_e32 v[44:45], v[84:85], v[44:45]
	v_add_f64_e32 v[84:85], v[92:93], v[114:115]
	;; [unrolled: 1-line block ×4, first 2 shown]
	v_mul_f64_e32 v[30:31], s[16:17], v[116:117]
	v_add_f64_e32 v[38:39], v[38:39], v[104:105]
	v_add_f64_e32 v[34:35], v[50:51], v[34:35]
	;; [unrolled: 1-line block ×4, first 2 shown]
	v_mul_f64_e32 v[116:117], s[10:11], v[116:117]
	v_add_f64_e32 v[92:93], v[108:109], v[110:111]
	v_add_f64_e32 v[12:13], v[12:13], v[88:89]
	;; [unrolled: 1-line block ×3, first 2 shown]
	v_mul_f64_e32 v[50:51], s[4:5], v[140:141]
	v_mul_f64_e32 v[88:89], s[18:19], v[140:141]
	v_add_f64_e32 v[8:9], v[8:9], v[130:131]
	v_add_f64_e32 v[98:99], v[102:103], v[134:135]
	;; [unrolled: 1-line block ×4, first 2 shown]
	v_mul_f64_e32 v[96:97], s[14:15], v[140:141]
	v_mul_f64_e32 v[86:87], s[10:11], v[140:141]
	v_add_f64_e32 v[22:23], v[22:23], v[26:27]
	v_mul_f64_e32 v[26:27], s[16:17], v[140:141]
	v_add_f64_e32 v[30:31], v[30:31], v[126:127]
	v_add_f64_e32 v[34:35], v[38:39], v[34:35]
	;; [unrolled: 1-line block ×8, first 2 shown]
	v_mul_f64_e32 v[16:17], s[18:19], v[152:153]
	v_mul_f64_e32 v[46:47], s[10:11], v[152:153]
	;; [unrolled: 1-line block ×3, first 2 shown]
	v_add_f64_e32 v[50:51], v[50:51], v[128:129]
	v_add_f64_e32 v[88:89], v[88:89], v[122:123]
	;; [unrolled: 1-line block ×3, first 2 shown]
	v_mul_f64_e32 v[44:45], s[16:17], v[152:153]
	v_mul_f64_e32 v[90:91], s[4:5], v[152:153]
	v_add_f64_e32 v[94:95], v[96:97], v[136:137]
	v_add_f64_e32 v[86:87], v[86:87], v[124:125]
	;; [unrolled: 1-line block ×3, first 2 shown]
	v_mul_f64_e32 v[22:23], s[12:13], v[152:153]
	v_add_f64_e32 v[26:27], v[26:27], v[132:133]
	v_add_f64_e32 v[8:9], v[8:9], v[34:35]
	;; [unrolled: 1-line block ×28, first 2 shown]
	v_mul_u32_u24_e32 v10, 0x60, v73
	s_delay_alu instid0(VALU_DEP_1)
	v_add3_u32 v10, v159, v10, v156
	ds_store_2addr_b64 v10, v[36:37], v[32:33] offset0:8 offset1:9
	ds_store_2addr_b64 v10, v[28:29], v[20:21] offset0:10 offset1:11
	;; [unrolled: 1-line block ×4, first 2 shown]
	ds_store_2addr_b64 v10, v[6:7], v[8:9] offset1:1
	ds_store_2addr_b64 v10, v[14:15], v[2:3] offset0:2 offset1:3
	ds_store_b64 v10, v[4:5] offset:96
.LBB0_19:
	s_wait_alu 0xfffe
	s_or_b32 exec_lo, exec_lo, s20
	v_add_nc_u32_e32 v3, 0x400, v158
	v_add_nc_u32_e32 v10, 0xc00, v158
	v_add_nc_u32_e32 v2, 0x1400, v158
	global_wb scope:SCOPE_SE
	s_wait_dscnt 0x0
	s_barrier_signal -1
	s_barrier_wait -1
	global_inv scope:SCOPE_SE
	ds_load_b64 v[18:19], v157
	ds_load_2addr_b64 v[6:9], v3 offset0:15 offset1:158
	ds_load_2addr_b64 v[14:17], v10 offset0:45 offset1:188
	;; [unrolled: 1-line block ×3, first 2 shown]
                                        ; implicit-def: $vgpr22_vgpr23
	s_and_saveexec_b32 s1, s0
	s_cbranch_execz .LBB0_21
; %bb.20:
	v_add_nc_u32_e32 v20, 0xa00, v158
	ds_load_2addr_b64 v[2:5], v2 offset0:23 offset1:166
	ds_load_2addr_b64 v[24:27], v158 offset0:91 offset1:234
	;; [unrolled: 1-line block ×3, first 2 shown]
	ds_load_b64 v[22:23], v158 offset:7592
	s_wait_dscnt 0x3
	v_dual_mov_b32 v21, v3 :: v_dual_mov_b32 v20, v2
	s_wait_dscnt 0x1
	v_dual_mov_b32 v28, v32 :: v_dual_mov_b32 v29, v33
	v_dual_mov_b32 v33, v31 :: v_dual_mov_b32 v32, v30
	;; [unrolled: 1-line block ×3, first 2 shown]
.LBB0_21:
	s_wait_alu 0xfffe
	s_or_b32 exec_lo, exec_lo, s1
	v_and_b32_e32 v2, 0xff, v73
	s_mov_b32 s4, 0x37e14327
	s_mov_b32 s12, 0xe976ee23
	;; [unrolled: 1-line block ×4, first 2 shown]
	v_mul_lo_u16 v2, 0x4f, v2
	s_mov_b32 s10, 0x429ad128
	s_mov_b32 s14, 0x36b3c0b5
	s_mov_b32 s11, 0x3febfeb5
	s_mov_b32 s15, 0x3fac98ee
	v_lshrrev_b16 v124, 10, v2
	s_mov_b32 s16, 0xaaaaaaaa
	s_mov_b32 s22, 0xb247c609
	s_mov_b32 s17, 0xbff2aaaa
	s_mov_b32 s18, 0x5476071b
	v_mul_lo_u16 v2, v124, 13
	s_mov_b32 s23, 0x3fd5d0dc
	s_mov_b32 s19, 0x3fe77f67
	;; [unrolled: 1-line block ×4, first 2 shown]
	v_sub_nc_u16 v2, v73, v2
	s_wait_alu 0xfffe
	s_mov_b32 s20, s18
	s_mov_b32 s24, s22
	;; [unrolled: 1-line block ×4, first 2 shown]
	v_and_b32_e32 v125, 0xff, v2
	s_delay_alu instid0(VALU_DEP_1) | instskip(NEXT) | instid1(VALU_DEP_1)
	v_mul_u32_u24_e32 v2, 6, v125
	v_lshlrev_b32_e32 v2, 4, v2
	s_clause 0x5
	global_load_b128 v[42:45], v2, s[8:9]
	global_load_b128 v[38:41], v2, s[8:9] offset:16
	global_load_b128 v[46:49], v2, s[8:9] offset:80
	;; [unrolled: 1-line block ×5, first 2 shown]
	v_add_nc_u16 v2, v73, 0x5b
	s_delay_alu instid0(VALU_DEP_1) | instskip(NEXT) | instid1(VALU_DEP_1)
	v_and_b32_e32 v3, 0xff, v2
	v_mul_lo_u16 v3, 0x4f, v3
	s_delay_alu instid0(VALU_DEP_1) | instskip(NEXT) | instid1(VALU_DEP_1)
	v_lshrrev_b16 v126, 10, v3
	v_mul_lo_u16 v3, v126, 13
	s_delay_alu instid0(VALU_DEP_1) | instskip(NEXT) | instid1(VALU_DEP_1)
	v_sub_nc_u16 v2, v2, v3
	v_and_b32_e32 v127, 0xff, v2
	s_delay_alu instid0(VALU_DEP_1) | instskip(NEXT) | instid1(VALU_DEP_1)
	v_mul_u32_u24_e32 v2, 6, v127
	v_lshlrev_b32_e32 v2, 4, v2
	s_clause 0x5
	global_load_b128 v[96:99], v2, s[8:9]
	global_load_b128 v[100:103], v2, s[8:9] offset:16
	global_load_b128 v[104:107], v2, s[8:9] offset:32
	;; [unrolled: 1-line block ×5, first 2 shown]
	global_wb scope:SCOPE_SE
	s_wait_loadcnt_dscnt 0x0
	s_barrier_signal -1
	s_barrier_wait -1
	global_inv scope:SCOPE_SE
	v_mul_f64_e32 v[2:3], v[6:7], v[44:45]
	v_mul_f64_e32 v[26:27], v[8:9], v[40:41]
	;; [unrolled: 1-line block ×12, first 2 shown]
	v_fma_f64 v[2:3], v[60:61], v[42:43], -v[2:3]
	v_fma_f64 v[30:31], v[62:63], v[38:39], -v[26:27]
	;; [unrolled: 1-line block ×4, first 2 shown]
	v_fma_f64 v[6:7], v[6:7], v[42:43], v[44:45]
	v_fma_f64 v[38:39], v[8:9], v[38:39], v[40:41]
	v_fma_f64 v[8:9], v[56:57], v[88:89], -v[120:121]
	v_fma_f64 v[14:15], v[14:15], v[88:89], v[90:91]
	v_fma_f64 v[40:41], v[10:11], v[84:85], v[86:87]
	v_fma_f64 v[10:11], v[58:59], v[92:93], -v[122:123]
	v_fma_f64 v[16:17], v[16:17], v[92:93], v[94:95]
	v_fma_f64 v[12:13], v[12:13], v[46:47], v[48:49]
	v_mul_f64_e32 v[84:85], v[78:79], v[102:103]
	v_mul_f64_e32 v[86:87], v[28:29], v[106:107]
	;; [unrolled: 1-line block ×6, first 2 shown]
	v_add_f64_e32 v[42:43], v[2:3], v[26:27]
	v_add_f64_e32 v[44:45], v[30:31], v[34:35]
	v_add_f64_e64 v[46:47], v[38:39], -v[40:41]
	v_add_f64_e32 v[48:49], v[8:9], v[10:11]
	v_add_f64_e64 v[50:51], v[16:17], -v[14:15]
	v_add_f64_e64 v[56:57], v[6:7], -v[12:13]
	v_add_f64_e32 v[58:59], v[44:45], v[42:43]
	s_delay_alu instid0(VALU_DEP_4) | instskip(NEXT) | instid1(VALU_DEP_4)
	v_add_f64_e64 v[60:61], v[42:43], -v[48:49]
	v_add_f64_e64 v[62:63], v[50:51], -v[46:47]
	s_delay_alu instid0(VALU_DEP_4)
	v_add_f64_e64 v[64:65], v[46:47], -v[56:57]
	v_add_f64_e32 v[46:47], v[50:51], v[46:47]
	v_add_f64_e64 v[50:51], v[56:57], -v[50:51]
	v_add_f64_e64 v[42:43], v[44:45], -v[42:43]
	v_add_f64_e32 v[58:59], v[48:49], v[58:59]
	v_add_f64_e64 v[48:49], v[48:49], -v[44:45]
	v_mul_f64_e32 v[60:61], s[4:5], v[60:61]
	v_mul_f64_e32 v[62:63], s[12:13], v[62:63]
	;; [unrolled: 1-line block ×3, first 2 shown]
	v_add_f64_e32 v[46:47], v[46:47], v[56:57]
	v_add_f64_e32 v[82:83], v[82:83], v[58:59]
	v_mul_f64_e32 v[44:45], s[14:15], v[48:49]
	v_fma_f64 v[48:49], v[48:49], s[14:15], v[60:61]
	v_fma_f64 v[56:57], v[50:51], s[22:23], v[62:63]
	v_fma_f64 v[62:63], v[64:65], s[10:11], -v[62:63]
	s_wait_alu 0xfffe
	v_fma_f64 v[50:51], v[50:51], s[24:25], -v[66:67]
	v_fma_f64 v[60:61], v[42:43], s[20:21], -v[60:61]
	v_mul_f64_e32 v[64:65], v[80:81], v[98:99]
	v_mul_f64_e32 v[66:67], v[32:33], v[102:103]
	;; [unrolled: 1-line block ×4, first 2 shown]
	v_fma_f64 v[58:59], v[58:59], s[16:17], v[82:83]
	v_fma_f64 v[42:43], v[42:43], s[18:19], -v[44:45]
	v_mul_f64_e32 v[44:45], v[36:37], v[98:99]
	v_mul_f64_e32 v[98:99], v[54:55], v[114:115]
	v_fma_f64 v[54:55], v[54:55], v[112:113], -v[94:95]
	v_fma_f64 v[106:107], v[46:47], s[26:27], v[56:57]
	v_fma_f64 v[62:63], v[46:47], s[26:27], v[62:63]
	;; [unrolled: 1-line block ×4, first 2 shown]
	v_fma_f64 v[32:33], v[76:77], v[104:105], -v[86:87]
	v_fma_f64 v[50:51], v[20:21], v[108:109], v[92:93]
	v_fma_f64 v[56:57], v[0:1], v[116:117], -v[102:103]
	v_fma_f64 v[22:23], v[22:23], v[116:117], v[118:119]
	v_add_f64_e32 v[114:115], v[48:49], v[58:59]
	v_add_f64_e32 v[60:61], v[60:61], v[58:59]
	;; [unrolled: 1-line block ×3, first 2 shown]
	v_fma_f64 v[42:43], v[80:81], v[96:97], -v[44:45]
	v_fma_f64 v[44:45], v[36:37], v[96:97], v[64:65]
	v_fma_f64 v[36:37], v[78:79], v[100:101], -v[66:67]
	v_fma_f64 v[48:49], v[28:29], v[104:105], v[88:89]
	;; [unrolled: 2-line block ×3, first 2 shown]
	v_add_f64_e32 v[0:1], v[106:107], v[114:115]
	v_add_f64_e32 v[4:5], v[110:111], v[60:61]
	v_add_f64_e64 v[20:21], v[120:121], -v[62:63]
	v_add_f64_e32 v[63:64], v[62:63], v[120:121]
	v_add_f64_e64 v[65:66], v[60:61], -v[110:111]
	v_add_f64_e64 v[74:75], v[114:115], -v[106:107]
	v_and_b32_e32 v60, 0xffff, v124
	v_lshlrev_b32_e32 v62, 3, v125
	s_delay_alu instid0(VALU_DEP_2) | instskip(SKIP_1) | instid1(VALU_DEP_2)
	v_mad_u32_u24 v61, 0x2d8, v60, 0
	v_and_b32_e32 v60, 0xffff, v126
	v_add3_u32 v62, v61, v62, v156
	v_lshlrev_b32_e32 v61, 3, v127
	ds_store_2addr_b64 v62, v[82:83], v[0:1] offset1:13
	ds_store_2addr_b64 v62, v[4:5], v[20:21] offset0:26 offset1:39
	ds_store_2addr_b64 v62, v[63:64], v[65:66] offset0:52 offset1:65
	ds_store_b64 v62, v[74:75] offset:624
	s_and_saveexec_b32 s1, s0
	s_cbranch_execz .LBB0_23
; %bb.22:
	v_add_f64_e32 v[0:1], v[36:37], v[54:55]
	v_add_f64_e32 v[4:5], v[42:43], v[56:57]
	v_add_f64_e64 v[20:21], v[50:51], -v[48:49]
	v_add_f64_e64 v[63:64], v[46:47], -v[58:59]
	v_add_f64_e32 v[65:66], v[32:33], v[28:29]
	v_add_f64_e64 v[74:75], v[44:45], -v[22:23]
	v_add_f64_e32 v[76:77], v[0:1], v[4:5]
	s_delay_alu instid0(VALU_DEP_4) | instskip(NEXT) | instid1(VALU_DEP_4)
	v_add_f64_e64 v[78:79], v[20:21], -v[63:64]
	v_add_f64_e64 v[80:81], v[4:5], -v[65:66]
	s_delay_alu instid0(VALU_DEP_4)
	v_add_f64_e64 v[82:83], v[63:64], -v[74:75]
	v_add_f64_e32 v[63:64], v[20:21], v[63:64]
	v_add_f64_e64 v[20:21], v[74:75], -v[20:21]
	v_add_f64_e32 v[76:77], v[65:66], v[76:77]
	v_add_f64_e64 v[65:66], v[65:66], -v[0:1]
	v_add_f64_e64 v[0:1], v[0:1], -v[4:5]
	v_mul_f64_e32 v[4:5], s[12:13], v[78:79]
	v_mul_f64_e32 v[78:79], s[4:5], v[80:81]
	;; [unrolled: 1-line block ×3, first 2 shown]
	v_add_f64_e32 v[63:64], v[63:64], v[74:75]
	v_add_f64_e32 v[52:53], v[52:53], v[76:77]
	v_mul_f64_e32 v[84:85], s[14:15], v[65:66]
	v_fma_f64 v[74:75], v[20:21], s[22:23], v[4:5]
	v_fma_f64 v[65:66], v[65:66], s[14:15], v[78:79]
	v_fma_f64 v[86:87], v[0:1], s[20:21], -v[78:79]
	v_fma_f64 v[20:21], v[20:21], s[24:25], -v[80:81]
	v_fma_f64 v[4:5], v[82:83], s[10:11], -v[4:5]
	v_fma_f64 v[76:77], v[76:77], s[16:17], v[52:53]
	v_fma_f64 v[0:1], v[0:1], s[18:19], -v[84:85]
	v_fma_f64 v[74:75], v[63:64], s[26:27], v[74:75]
	v_fma_f64 v[20:21], v[63:64], s[26:27], v[20:21]
	;; [unrolled: 1-line block ×3, first 2 shown]
	v_add_f64_e32 v[65:66], v[65:66], v[76:77]
	v_add_f64_e32 v[63:64], v[86:87], v[76:77]
	;; [unrolled: 1-line block ×3, first 2 shown]
	s_delay_alu instid0(VALU_DEP_3) | instskip(NEXT) | instid1(VALU_DEP_3)
	v_add_f64_e32 v[80:81], v[74:75], v[65:66]
	v_add_f64_e64 v[76:77], v[63:64], -v[20:21]
	s_delay_alu instid0(VALU_DEP_3) | instskip(SKIP_4) | instid1(VALU_DEP_1)
	v_add_f64_e64 v[78:79], v[0:1], -v[4:5]
	v_add_f64_e32 v[20:21], v[20:21], v[63:64]
	v_add_f64_e32 v[0:1], v[4:5], v[0:1]
	v_add_f64_e64 v[4:5], v[65:66], -v[74:75]
	v_mad_u32_u24 v63, 0x2d8, v60, 0
	v_add3_u32 v63, v63, v61, v156
	ds_store_2addr_b64 v63, v[52:53], v[80:81] offset1:13
	ds_store_2addr_b64 v63, v[20:21], v[78:79] offset0:26 offset1:39
	ds_store_2addr_b64 v63, v[0:1], v[76:77] offset0:52 offset1:65
	ds_store_b64 v63, v[4:5] offset:624
.LBB0_23:
	s_wait_alu 0xfffe
	s_or_b32 exec_lo, exec_lo, s1
	v_add_f64_e32 v[0:1], v[6:7], v[12:13]
	v_add_f64_e32 v[4:5], v[38:39], v[40:41]
	v_add_f64_e64 v[6:7], v[30:31], -v[34:35]
	v_add_f64_e32 v[12:13], v[14:15], v[16:17]
	v_add_f64_e64 v[8:9], v[10:11], -v[8:9]
	v_add_f64_e64 v[2:3], v[2:3], -v[26:27]
	global_wb scope:SCOPE_SE
	s_wait_dscnt 0x0
	s_barrier_signal -1
	s_barrier_wait -1
	global_inv scope:SCOPE_SE
	v_add_f64_e32 v[10:11], v[4:5], v[0:1]
	v_add_f64_e64 v[14:15], v[0:1], -v[12:13]
	v_add_f64_e64 v[16:17], v[8:9], -v[6:7]
	;; [unrolled: 1-line block ×3, first 2 shown]
	v_add_f64_e32 v[6:7], v[8:9], v[6:7]
	v_add_f64_e64 v[8:9], v[2:3], -v[8:9]
	v_add_f64_e64 v[0:1], v[4:5], -v[0:1]
	v_add_f64_e32 v[10:11], v[12:13], v[10:11]
	v_add_f64_e64 v[12:13], v[12:13], -v[4:5]
	v_mul_f64_e32 v[14:15], s[4:5], v[14:15]
	v_mul_f64_e32 v[16:17], s[12:13], v[16:17]
	;; [unrolled: 1-line block ×3, first 2 shown]
	v_add_f64_e32 v[2:3], v[6:7], v[2:3]
	v_add_f64_e32 v[30:31], v[18:19], v[10:11]
	v_mul_f64_e32 v[4:5], s[14:15], v[12:13]
	v_fma_f64 v[6:7], v[12:13], s[14:15], v[14:15]
	v_fma_f64 v[12:13], v[8:9], s[22:23], v[16:17]
	v_fma_f64 v[16:17], v[20:21], s[10:11], -v[16:17]
	v_fma_f64 v[8:9], v[8:9], s[24:25], -v[26:27]
	;; [unrolled: 1-line block ×3, first 2 shown]
	ds_load_b64 v[20:21], v157
	v_fma_f64 v[10:11], v[10:11], s[16:17], v[30:31]
	v_fma_f64 v[0:1], v[0:1], s[18:19], -v[4:5]
	v_fma_f64 v[4:5], v[2:3], s[26:27], v[12:13]
	v_fma_f64 v[12:13], v[2:3], s[26:27], v[16:17]
	;; [unrolled: 1-line block ×3, first 2 shown]
	v_add_f64_e32 v[6:7], v[6:7], v[10:11]
	v_add_f64_e32 v[8:9], v[14:15], v[10:11]
	;; [unrolled: 1-line block ×3, first 2 shown]
	s_delay_alu instid0(VALU_DEP_3) | instskip(NEXT) | instid1(VALU_DEP_3)
	v_add_f64_e64 v[26:27], v[6:7], -v[4:5]
	v_add_f64_e64 v[34:35], v[8:9], -v[2:3]
	s_delay_alu instid0(VALU_DEP_3)
	v_add_f64_e32 v[38:39], v[12:13], v[0:1]
	v_add_f64_e64 v[40:41], v[0:1], -v[12:13]
	v_add_f64_e32 v[52:53], v[2:3], v[8:9]
	v_add_f64_e32 v[63:64], v[4:5], v[6:7]
	v_add_nc_u32_e32 v0, 0x800, v158
	v_add_nc_u32_e32 v4, 0xc00, v158
	;; [unrolled: 1-line block ×4, first 2 shown]
	ds_load_2addr_b64 v[16:19], v158 offset0:91 offset1:182
	ds_load_2addr_b64 v[0:3], v0 offset0:17 offset1:108
	ds_load_2addr_b64 v[12:15], v4 offset0:71 offset1:162
	ds_load_2addr_b64 v[8:11], v5 offset0:125 offset1:216
	ds_load_2addr_b64 v[4:7], v6 offset0:51 offset1:142
	global_wb scope:SCOPE_SE
	s_wait_dscnt 0x0
	s_barrier_signal -1
	s_barrier_wait -1
	global_inv scope:SCOPE_SE
	ds_store_2addr_b64 v62, v[30:31], v[26:27] offset1:13
	ds_store_2addr_b64 v62, v[34:35], v[38:39] offset0:26 offset1:39
	ds_store_2addr_b64 v62, v[40:41], v[52:53] offset0:52 offset1:65
	ds_store_b64 v62, v[63:64] offset:624
	s_and_saveexec_b32 s1, s0
	s_cbranch_execz .LBB0_25
; %bb.24:
	v_add_f64_e32 v[22:23], v[44:45], v[22:23]
	v_add_f64_e32 v[26:27], v[46:47], v[58:59]
	;; [unrolled: 1-line block ×3, first 2 shown]
	v_add_f64_e64 v[34:35], v[36:37], -v[54:55]
	v_add_f64_e64 v[28:29], v[28:29], -v[32:33]
	;; [unrolled: 1-line block ×3, first 2 shown]
	s_mov_b32 s10, 0x36b3c0b5
	s_mov_b32 s11, 0x3fac98ee
	;; [unrolled: 1-line block ×6, first 2 shown]
	v_add_f64_e32 v[36:37], v[26:27], v[22:23]
	v_add_f64_e64 v[38:39], v[22:23], -v[30:31]
	v_add_f64_e64 v[40:41], v[30:31], -v[26:27]
	;; [unrolled: 1-line block ×5, first 2 shown]
	v_add_f64_e32 v[26:27], v[28:29], v[34:35]
	v_add_f64_e64 v[28:29], v[32:33], -v[28:29]
	v_add_f64_e32 v[30:31], v[30:31], v[36:37]
	v_mul_f64_e32 v[34:35], s[4:5], v[38:39]
	s_mov_b32 s4, 0x429ad128
	v_mul_f64_e32 v[38:39], s[12:13], v[42:43]
	s_mov_b32 s5, 0x3febfeb5
	s_wait_alu 0xfffe
	v_mul_f64_e32 v[36:37], s[10:11], v[40:41]
	v_mul_f64_e32 v[42:43], s[4:5], v[44:45]
	s_mov_b32 s12, 0xaaaaaaaa
	s_mov_b32 s13, 0xbff2aaaa
	v_add_f64_e32 v[26:27], v[26:27], v[32:33]
	v_add_f64_e32 v[24:25], v[24:25], v[30:31]
	v_fma_f64 v[32:33], v[40:41], s[10:11], v[34:35]
	v_fma_f64 v[40:41], v[28:29], s[16:17], v[38:39]
	s_mov_b32 s17, 0xbfd5d0dc
	v_fma_f64 v[36:37], v[22:23], s[14:15], -v[36:37]
	s_mov_b32 s15, 0xbfe77f67
	v_fma_f64 v[38:39], v[44:45], s[4:5], -v[38:39]
	s_wait_alu 0xfffe
	v_fma_f64 v[28:29], v[28:29], s[16:17], -v[42:43]
	v_fma_f64 v[22:23], v[22:23], s[14:15], -v[34:35]
	s_mov_b32 s4, 0x37c3f68c
	s_mov_b32 s5, 0x3fdc38aa
	v_fma_f64 v[30:31], v[30:31], s[12:13], v[24:25]
	s_wait_alu 0xfffe
	v_fma_f64 v[34:35], v[26:27], s[4:5], v[40:41]
	v_fma_f64 v[38:39], v[26:27], s[4:5], v[38:39]
	;; [unrolled: 1-line block ×3, first 2 shown]
	s_delay_alu instid0(VALU_DEP_4) | instskip(SKIP_2) | instid1(VALU_DEP_3)
	v_add_f64_e32 v[28:29], v[32:33], v[30:31]
	v_add_f64_e32 v[22:23], v[22:23], v[30:31]
	;; [unrolled: 1-line block ×3, first 2 shown]
	v_add_f64_e64 v[32:33], v[28:29], -v[34:35]
	s_delay_alu instid0(VALU_DEP_3) | instskip(NEXT) | instid1(VALU_DEP_3)
	v_add_f64_e64 v[36:37], v[22:23], -v[26:27]
	v_add_f64_e32 v[40:41], v[38:39], v[30:31]
	v_add_f64_e64 v[30:31], v[30:31], -v[38:39]
	v_add_f64_e32 v[22:23], v[26:27], v[22:23]
	v_add_f64_e32 v[26:27], v[34:35], v[28:29]
	v_mad_u32_u24 v28, 0x2d8, v60, 0
	s_delay_alu instid0(VALU_DEP_1)
	v_add3_u32 v28, v28, v61, v156
	ds_store_2addr_b64 v28, v[24:25], v[32:33] offset1:13
	ds_store_2addr_b64 v28, v[36:37], v[40:41] offset0:26 offset1:39
	ds_store_2addr_b64 v28, v[30:31], v[22:23] offset0:52 offset1:65
	ds_store_b64 v28, v[26:27] offset:624
.LBB0_25:
	s_wait_alu 0xfffe
	s_or_b32 exec_lo, exec_lo, s1
	global_wb scope:SCOPE_SE
	s_wait_dscnt 0x0
	s_barrier_signal -1
	s_barrier_wait -1
	global_inv scope:SCOPE_SE
	s_and_saveexec_b32 s0, vcc_lo
	s_cbranch_execz .LBB0_27
; %bb.26:
	v_mul_u32_u24_e32 v22, 10, v73
	v_add_nc_u32_e32 v77, 0x800, v158
	v_add_nc_u32_e32 v81, 0x1000, v158
	;; [unrolled: 1-line block ×3, first 2 shown]
	s_mov_b32 s26, 0x640f44db
	v_lshlrev_b32_e32 v26, 4, v22
	s_mov_b32 s0, 0xd9c712b6
	s_mov_b32 s4, 0x8eee2c13
	;; [unrolled: 1-line block ×4, first 2 shown]
	s_clause 0x9
	global_load_b128 v[22:25], v26, s[8:9] offset:1248
	global_load_b128 v[30:33], v26, s[8:9] offset:1312
	;; [unrolled: 1-line block ×10, first 2 shown]
	ds_load_2addr_b64 v[73:76], v158 offset0:91 offset1:182
	s_mov_b32 s14, 0x9bcd5057
	s_mov_b32 s16, 0xfd768dbf
	;; [unrolled: 1-line block ×12, first 2 shown]
	s_wait_alu 0xfffe
	s_mov_b32 s24, s12
	s_mov_b32 s20, s16
	;; [unrolled: 1-line block ×12, first 2 shown]
	s_wait_alu 0xfffe
	s_mov_b32 s22, s18
	s_wait_loadcnt 0x9
	v_mul_f64_e32 v[28:29], v[16:17], v[24:25]
	s_wait_dscnt 0x0
	v_mul_f64_e32 v[66:67], v[73:74], v[24:25]
	s_wait_loadcnt 0x7
	v_mul_f64_e32 v[91:92], v[14:15], v[36:37]
	v_add_nc_u32_e32 v24, 0xc00, v158
	s_wait_loadcnt 0x5
	v_mul_f64_e32 v[95:96], v[8:9], v[44:45]
	v_mul_f64_e32 v[89:90], v[12:13], v[32:33]
	s_wait_loadcnt 0x4
	v_mul_f64_e32 v[97:98], v[0:1], v[48:49]
	s_wait_loadcnt 0x2
	v_mul_f64_e32 v[101:102], v[18:19], v[56:57]
	v_mul_f64_e32 v[56:57], v[75:76], v[56:57]
	ds_load_2addr_b64 v[24:27], v24 offset0:71 offset1:162
	ds_load_2addr_b64 v[77:80], v77 offset0:17 offset1:108
	;; [unrolled: 1-line block ×4, first 2 shown]
	v_mul_f64_e32 v[99:100], v[10:11], v[52:53]
	s_wait_loadcnt 0x0
	v_mul_f64_e32 v[105:106], v[6:7], v[64:65]
	v_mul_f64_e32 v[103:104], v[4:5], v[60:61]
	;; [unrolled: 1-line block ×3, first 2 shown]
	s_wait_dscnt 0x2
	v_mul_f64_e32 v[48:49], v[77:78], v[48:49]
	v_mul_f64_e32 v[36:37], v[26:27], v[36:37]
	s_wait_dscnt 0x1
	v_mul_f64_e32 v[44:45], v[81:82], v[44:45]
	v_mul_f64_e32 v[52:53], v[83:84], v[52:53]
	;; [unrolled: 1-line block ×4, first 2 shown]
	s_wait_dscnt 0x0
	v_mul_f64_e32 v[64:65], v[87:88], v[64:65]
	v_mul_f64_e32 v[60:61], v[85:86], v[60:61]
	v_fma_f64 v[73:74], v[73:74], v[22:23], v[28:29]
	v_fma_f64 v[66:67], v[16:17], v[22:23], -v[66:67]
	ds_load_b64 v[28:29], v157
	v_fma_f64 v[91:92], v[26:27], v[34:35], v[91:92]
	v_fma_f64 v[26:27], v[81:82], v[42:43], v[95:96]
	;; [unrolled: 1-line block ×5, first 2 shown]
	v_fma_f64 v[18:19], v[18:19], v[54:55], -v[56:57]
	v_fma_f64 v[24:25], v[83:84], v[50:51], v[99:100]
	v_fma_f64 v[16:17], v[87:88], v[62:63], v[105:106]
	;; [unrolled: 1-line block ×4, first 2 shown]
	v_fma_f64 v[0:1], v[0:1], v[46:47], -v[48:49]
	v_fma_f64 v[14:15], v[14:15], v[34:35], -v[36:37]
	;; [unrolled: 1-line block ×8, first 2 shown]
	s_wait_dscnt 0x0
	v_add_f64_e32 v[81:82], v[28:29], v[73:74]
	v_add_f64_e32 v[54:55], v[20:21], v[66:67]
	;; [unrolled: 1-line block ×3, first 2 shown]
	v_add_f64_e64 v[46:47], v[89:90], -v[91:92]
	v_add_f64_e64 v[40:41], v[77:78], -v[24:25]
	v_add_f64_e32 v[36:37], v[73:74], v[16:17]
	v_add_f64_e64 v[44:45], v[73:74], -v[16:17]
	v_add_f64_e32 v[34:35], v[75:76], v[22:23]
	;; [unrolled: 2-line block ×3, first 2 shown]
	v_add_f64_e32 v[30:31], v[79:80], v[26:27]
	v_add_f64_e64 v[48:49], v[79:80], -v[26:27]
	v_add_f64_e64 v[58:59], v[0:1], -v[10:11]
	v_add_f64_e32 v[64:65], v[12:13], v[14:15]
	v_add_f64_e64 v[56:57], v[2:3], -v[8:9]
	v_add_f64_e64 v[62:63], v[66:67], -v[38:39]
	v_add_f64_e32 v[66:67], v[66:67], v[38:39]
	v_add_f64_e64 v[60:61], v[18:19], -v[4:5]
	v_add_f64_e32 v[73:74], v[2:3], v[8:9]
	v_add_f64_e32 v[50:51], v[75:76], v[81:82]
	;; [unrolled: 1-line block ×5, first 2 shown]
	v_add_f64_e64 v[54:55], v[12:13], -v[14:15]
	v_mul_f64_e32 v[105:106], s[0:1], v[6:7]
	v_mul_f64_e32 v[111:112], s[30:31], v[46:47]
	;; [unrolled: 1-line block ×17, first 2 shown]
	s_wait_alu 0xfffe
	v_mul_f64_e32 v[97:98], s[22:23], v[42:43]
	v_mul_f64_e32 v[107:108], s[26:27], v[34:35]
	;; [unrolled: 1-line block ×14, first 2 shown]
	v_add_f64_e32 v[50:51], v[77:78], v[50:51]
	v_add_f64_e32 v[0:1], v[0:1], v[52:53]
	v_mul_f64_e32 v[52:53], s[8:9], v[32:33]
	v_mul_f64_e32 v[32:33], s[26:27], v[32:33]
	;; [unrolled: 1-line block ×7, first 2 shown]
	v_fma_f64 v[151:152], v[75:76], s[10:11], v[95:96]
	v_fma_f64 v[149:150], v[62:63], s[16:17], v[93:94]
	;; [unrolled: 1-line block ×7, first 2 shown]
	v_fma_f64 v[119:120], v[66:67], s[10:11], -v[119:120]
	v_fma_f64 v[169:170], v[62:63], s[28:29], v[125:126]
	v_fma_f64 v[125:126], v[62:63], s[34:35], v[125:126]
	;; [unrolled: 1-line block ×4, first 2 shown]
	v_fma_f64 v[181:182], v[66:67], s[0:1], -v[143:144]
	v_fma_f64 v[175:176], v[66:67], s[26:27], v[131:132]
	v_fma_f64 v[131:132], v[66:67], s[26:27], -v[131:132]
	v_fma_f64 v[143:144], v[66:67], s[0:1], v[143:144]
	v_fma_f64 v[185:186], v[66:67], s[8:9], v[44:45]
	;; [unrolled: 1-line block ×4, first 2 shown]
	v_fma_f64 v[44:45], v[66:67], s[8:9], -v[44:45]
	v_fma_f64 v[145:146], v[58:59], s[12:13], v[85:86]
	v_fma_f64 v[147:148], v[60:61], s[18:19], v[87:88]
	;; [unrolled: 1-line block ×7, first 2 shown]
	v_add_f64_e32 v[50:51], v[79:80], v[50:51]
	v_add_f64_e32 v[0:1], v[2:3], v[0:1]
	v_fma_f64 v[79:80], v[75:76], s[10:11], -v[95:96]
	v_fma_f64 v[95:96], v[66:67], s[14:15], -v[99:100]
	v_fma_f64 v[2:3], v[18:19], s[8:9], -v[97:98]
	v_fma_f64 v[97:98], v[58:59], s[22:23], v[52:53]
	v_fma_f64 v[99:100], v[60:61], s[34:35], v[107:108]
	;; [unrolled: 1-line block ×4, first 2 shown]
	v_fma_f64 v[115:116], v[75:76], s[8:9], -v[115:116]
	v_fma_f64 v[117:118], v[18:19], s[26:27], -v[117:118]
	v_fma_f64 v[165:166], v[58:59], s[4:5], v[121:122]
	v_fma_f64 v[167:168], v[60:61], s[20:21], v[123:124]
	v_fma_f64 v[171:172], v[75:76], s[0:1], v[127:128]
	v_fma_f64 v[121:122], v[58:59], s[30:31], v[121:122]
	v_fma_f64 v[123:124], v[60:61], s[16:17], v[123:124]
	v_fma_f64 v[127:128], v[75:76], s[0:1], -v[127:128]
	v_fma_f64 v[177:178], v[58:59], s[20:21], v[133:134]
	v_fma_f64 v[62:63], v[60:61], s[12:13], v[135:136]
	;; [unrolled: 1-line block ×3, first 2 shown]
	v_add_f64_e32 v[133:134], v[28:29], v[149:150]
	v_fma_f64 v[135:136], v[60:61], s[24:25], v[135:136]
	v_add_f64_e32 v[149:150], v[20:21], v[155:156]
	v_add_f64_e32 v[93:94], v[28:29], v[93:94]
	v_fma_f64 v[155:156], v[58:59], s[28:29], v[32:33]
	v_fma_f64 v[32:33], v[58:59], s[34:35], v[32:33]
	;; [unrolled: 1-line block ×4, first 2 shown]
	v_add_f64_e32 v[157:158], v[28:29], v[157:158]
	v_add_f64_e32 v[109:110], v[28:29], v[109:110]
	;; [unrolled: 1-line block ×7, first 2 shown]
	v_fma_f64 v[173:174], v[18:19], s[14:15], v[129:130]
	v_fma_f64 v[129:130], v[18:19], s[14:15], -v[129:130]
	v_add_f64_e32 v[131:132], v[20:21], v[131:132]
	v_add_f64_e32 v[50:51], v[89:90], v[50:51]
	;; [unrolled: 1-line block ×3, first 2 shown]
	v_fma_f64 v[89:90], v[75:76], s[14:15], v[139:140]
	v_fma_f64 v[12:13], v[18:19], s[10:11], v[141:142]
	v_fma_f64 v[139:140], v[75:76], s[14:15], -v[139:140]
	v_fma_f64 v[141:142], v[18:19], s[10:11], -v[141:142]
	v_add_f64_e32 v[60:61], v[20:21], v[95:96]
	v_fma_f64 v[95:96], v[75:76], s[26:27], v[40:41]
	v_fma_f64 v[40:41], v[75:76], s[26:27], -v[40:41]
	v_add_f64_e32 v[75:76], v[20:21], v[163:164]
	v_add_f64_e32 v[175:176], v[20:21], v[175:176]
	;; [unrolled: 1-line block ×4, first 2 shown]
	v_fma_f64 v[163:164], v[18:19], s[0:1], v[42:43]
	v_add_f64_e32 v[185:186], v[20:21], v[185:186]
	v_fma_f64 v[18:19], v[18:19], s[0:1], -v[42:43]
	v_add_f64_e32 v[183:184], v[28:29], v[183:184]
	v_add_f64_e32 v[28:29], v[28:29], v[36:37]
	;; [unrolled: 1-line block ×3, first 2 shown]
	v_mul_f64_e32 v[36:37], s[8:9], v[30:31]
	v_add_f64_e32 v[133:134], v[147:148], v[133:134]
	v_mul_f64_e32 v[147:148], s[26:27], v[30:31]
	v_add_f64_e32 v[149:150], v[153:154], v[149:150]
	v_add_f64_e32 v[87:88], v[87:88], v[93:94]
	v_mul_f64_e32 v[93:94], s[28:29], v[48:49]
	v_mul_f64_e32 v[30:31], s[10:11], v[30:31]
	;; [unrolled: 1-line block ×4, first 2 shown]
	v_add_f64_e32 v[99:100], v[99:100], v[157:158]
	v_add_f64_e32 v[107:108], v[107:108], v[109:110]
	;; [unrolled: 1-line block ×6, first 2 shown]
	v_mul_f64_e32 v[42:43], s[10:11], v[6:7]
	v_mul_f64_e32 v[6:7], s[14:15], v[6:7]
	v_fma_f64 v[157:158], v[56:57], s[4:5], v[83:84]
	v_add_f64_e32 v[129:130], v[129:130], v[131:132]
	v_add_f64_e32 v[50:51], v[91:92], v[50:51]
	;; [unrolled: 1-line block ×3, first 2 shown]
	v_mul_f64_e32 v[14:15], s[18:19], v[48:49]
	v_mul_f64_e32 v[48:49], s[24:25], v[48:49]
	;; [unrolled: 1-line block ×3, first 2 shown]
	v_add_f64_e32 v[135:136], v[141:142], v[181:182]
	v_add_f64_e32 v[2:3], v[2:3], v[60:61]
	v_mul_f64_e32 v[46:47], s[20:21], v[46:47]
	v_fma_f64 v[109:110], v[73:74], s[0:1], v[103:104]
	v_add_f64_e32 v[75:76], v[161:162], v[75:76]
	v_add_f64_e32 v[167:168], v[173:174], v[175:176]
	;; [unrolled: 1-line block ×4, first 2 shown]
	v_fma_f64 v[83:84], v[56:57], s[30:31], v[83:84]
	v_add_f64_e32 v[131:132], v[163:164], v[185:186]
	v_fma_f64 v[103:104], v[73:74], s[0:1], -v[103:104]
	v_add_f64_e32 v[58:59], v[58:59], v[183:184]
	v_add_f64_e32 v[28:29], v[34:35], v[28:29]
	v_fma_f64 v[34:35], v[56:57], s[20:21], v[77:78]
	v_fma_f64 v[60:61], v[54:55], s[28:29], v[81:82]
	;; [unrolled: 1-line block ×5, first 2 shown]
	v_add_f64_e32 v[85:86], v[85:86], v[87:88]
	v_fma_f64 v[141:142], v[73:74], s[26:27], v[93:94]
	v_fma_f64 v[93:94], v[73:74], s[26:27], -v[93:94]
	v_fma_f64 v[147:148], v[56:57], s[12:13], v[30:31]
	v_fma_f64 v[30:31], v[56:57], s[24:25], v[30:31]
	v_fma_f64 v[81:82], v[54:55], s[34:35], v[81:82]
	v_add_f64_e32 v[52:53], v[52:53], v[107:108]
	v_add_f64_e32 v[87:88], v[115:116], v[117:118]
	v_fma_f64 v[101:102], v[64:65], s[26:27], -v[101:102]
	v_add_f64_e32 v[107:108], v[121:122], v[123:124]
	v_add_f64_e32 v[66:67], v[66:67], v[125:126]
	v_fma_f64 v[121:122], v[64:65], s[8:9], -v[153:154]
	v_fma_f64 v[123:124], v[54:55], s[16:17], v[6:7]
	v_add_f64_e32 v[117:118], v[127:128], v[129:130]
	v_add_f64_e32 v[26:27], v[26:27], v[50:51]
	;; [unrolled: 1-line block ×4, first 2 shown]
	v_fma_f64 v[18:19], v[56:57], s[16:17], v[77:78]
	v_fma_f64 v[20:21], v[73:74], s[14:15], v[113:114]
	v_fma_f64 v[77:78], v[56:57], s[22:23], v[36:37]
	v_add_f64_e32 v[2:3], v[79:80], v[2:3]
	v_add_f64_e32 v[79:80], v[97:98], v[99:100]
	;; [unrolled: 1-line block ×5, first 2 shown]
	v_fma_f64 v[50:51], v[73:74], s[14:15], -v[113:114]
	v_fma_f64 v[113:114], v[73:74], s[8:9], v[14:15]
	v_fma_f64 v[36:37], v[56:57], s[18:19], v[36:37]
	v_fma_f64 v[14:15], v[73:74], s[8:9], -v[14:15]
	v_fma_f64 v[163:164], v[73:74], s[10:11], v[48:49]
	v_fma_f64 v[48:49], v[73:74], s[10:11], -v[48:49]
	v_add_f64_e32 v[56:57], v[145:146], v[133:134]
	v_add_f64_e32 v[73:74], v[151:152], v[149:150]
	;; [unrolled: 1-line block ×8, first 2 shown]
	v_fma_f64 v[32:33], v[54:55], s[30:31], v[105:106]
	v_fma_f64 v[95:96], v[54:55], s[12:13], v[42:43]
	;; [unrolled: 1-line block ×4, first 2 shown]
	v_add_f64_e32 v[34:35], v[34:35], v[52:53]
	v_fma_f64 v[125:126], v[64:65], s[14:15], v[46:47]
	v_fma_f64 v[46:47], v[64:65], s[14:15], -v[46:47]
	v_add_f64_e32 v[66:67], v[143:144], v[66:67]
	v_add_f64_e32 v[24:25], v[24:25], v[26:27]
	;; [unrolled: 1-line block ×4, first 2 shown]
	v_fma_f64 v[26:27], v[64:65], s[0:1], v[111:112]
	v_fma_f64 v[40:41], v[64:65], s[0:1], -v[111:112]
	v_fma_f64 v[111:112], v[54:55], s[18:19], v[44:45]
	v_fma_f64 v[44:45], v[54:55], s[22:23], v[44:45]
	;; [unrolled: 1-line block ×3, first 2 shown]
	v_add_f64_e32 v[52:53], v[77:78], v[97:98]
	v_add_f64_e32 v[20:21], v[20:21], v[75:76]
	;; [unrolled: 1-line block ×3, first 2 shown]
	v_fma_f64 v[105:106], v[64:65], s[10:11], v[91:92]
	v_fma_f64 v[91:92], v[64:65], s[10:11], -v[91:92]
	v_add_f64_e32 v[18:19], v[18:19], v[79:80]
	v_add_f64_e32 v[36:37], v[36:37], v[107:108]
	;; [unrolled: 1-line block ×4, first 2 shown]
	v_fma_f64 v[54:55], v[54:55], s[20:21], v[6:7]
	v_add_f64_e32 v[6:7], v[157:158], v[56:57]
	v_add_f64_e32 v[56:57], v[109:110], v[73:74]
	;; [unrolled: 1-line block ×10, first 2 shown]
	v_mul_lo_u32 v97, s3, v70
	v_mul_lo_u32 v98, s2, v71
	v_mad_co_u64_u32 v[70:71], null, s2, v70, 0
	v_add_f64_e32 v[14:15], v[32:33], v[34:35]
	s_delay_alu instid0(VALU_DEP_2)
	v_add3_u32 v71, v71, v98, v97
	v_add_f64_e32 v[89:90], v[22:23], v[24:25]
	v_add_f64_e32 v[93:94], v[4:5], v[0:1]
	;; [unrolled: 1-line block ×15, first 2 shown]
	v_mov_b32_e32 v73, 0
	v_add_f64_e32 v[18:19], v[105:106], v[75:76]
	v_add_f64_e32 v[32:33], v[111:112], v[62:63]
	;; [unrolled: 1-line block ×9, first 2 shown]
	v_lshlrev_b64_e32 v[16:17], 4, v[70:71]
	v_lshlrev_b64_e32 v[46:47], 4, v[68:69]
	s_delay_alu instid0(VALU_DEP_2) | instskip(SKIP_1) | instid1(VALU_DEP_3)
	v_add_co_u32 v48, vcc_lo, s6, v16
	s_wait_alu 0xfffd
	v_add_co_ci_u32_e32 v49, vcc_lo, s7, v17, vcc_lo
	v_lshlrev_b64_e32 v[16:17], 4, v[72:73]
	s_delay_alu instid0(VALU_DEP_3) | instskip(SKIP_1) | instid1(VALU_DEP_3)
	v_add_co_u32 v46, vcc_lo, v48, v46
	s_wait_alu 0xfffd
	v_add_co_ci_u32_e32 v47, vcc_lo, v49, v47, vcc_lo
	s_delay_alu instid0(VALU_DEP_2) | instskip(SKIP_1) | instid1(VALU_DEP_2)
	v_add_co_u32 v16, vcc_lo, v46, v16
	s_wait_alu 0xfffd
	v_add_co_ci_u32_e32 v17, vcc_lo, v47, v17, vcc_lo
	s_clause 0xa
	global_store_b128 v[16:17], v[26:29], off offset:2912
	global_store_b128 v[16:17], v[22:25], off offset:4368
	;; [unrolled: 1-line block ×8, first 2 shown]
	global_store_b128 v[16:17], v[42:45], off
	global_store_b128 v[16:17], v[38:41], off offset:1456
	global_store_b128 v[16:17], v[34:37], off offset:14560
.LBB0_27:
	s_nop 0
	s_sendmsg sendmsg(MSG_DEALLOC_VGPRS)
	s_endpgm
	.section	.rodata,"a",@progbits
	.p2align	6, 0x0
	.amdhsa_kernel fft_rtc_fwd_len1001_factors_13_7_11_wgs_182_tpt_91_halfLds_dp_op_CI_CI_unitstride_sbrr_dirReg
		.amdhsa_group_segment_fixed_size 0
		.amdhsa_private_segment_fixed_size 0
		.amdhsa_kernarg_size 104
		.amdhsa_user_sgpr_count 2
		.amdhsa_user_sgpr_dispatch_ptr 0
		.amdhsa_user_sgpr_queue_ptr 0
		.amdhsa_user_sgpr_kernarg_segment_ptr 1
		.amdhsa_user_sgpr_dispatch_id 0
		.amdhsa_user_sgpr_private_segment_size 0
		.amdhsa_wavefront_size32 1
		.amdhsa_uses_dynamic_stack 0
		.amdhsa_enable_private_segment 0
		.amdhsa_system_sgpr_workgroup_id_x 1
		.amdhsa_system_sgpr_workgroup_id_y 0
		.amdhsa_system_sgpr_workgroup_id_z 0
		.amdhsa_system_sgpr_workgroup_info 0
		.amdhsa_system_vgpr_workitem_id 0
		.amdhsa_next_free_vgpr 187
		.amdhsa_next_free_sgpr 44
		.amdhsa_reserve_vcc 1
		.amdhsa_float_round_mode_32 0
		.amdhsa_float_round_mode_16_64 0
		.amdhsa_float_denorm_mode_32 3
		.amdhsa_float_denorm_mode_16_64 3
		.amdhsa_fp16_overflow 0
		.amdhsa_workgroup_processor_mode 1
		.amdhsa_memory_ordered 1
		.amdhsa_forward_progress 0
		.amdhsa_round_robin_scheduling 0
		.amdhsa_exception_fp_ieee_invalid_op 0
		.amdhsa_exception_fp_denorm_src 0
		.amdhsa_exception_fp_ieee_div_zero 0
		.amdhsa_exception_fp_ieee_overflow 0
		.amdhsa_exception_fp_ieee_underflow 0
		.amdhsa_exception_fp_ieee_inexact 0
		.amdhsa_exception_int_div_zero 0
	.end_amdhsa_kernel
	.text
.Lfunc_end0:
	.size	fft_rtc_fwd_len1001_factors_13_7_11_wgs_182_tpt_91_halfLds_dp_op_CI_CI_unitstride_sbrr_dirReg, .Lfunc_end0-fft_rtc_fwd_len1001_factors_13_7_11_wgs_182_tpt_91_halfLds_dp_op_CI_CI_unitstride_sbrr_dirReg
                                        ; -- End function
	.section	.AMDGPU.csdata,"",@progbits
; Kernel info:
; codeLenInByte = 10268
; NumSgprs: 46
; NumVgprs: 187
; ScratchSize: 0
; MemoryBound: 1
; FloatMode: 240
; IeeeMode: 1
; LDSByteSize: 0 bytes/workgroup (compile time only)
; SGPRBlocks: 5
; VGPRBlocks: 23
; NumSGPRsForWavesPerEU: 46
; NumVGPRsForWavesPerEU: 187
; Occupancy: 8
; WaveLimiterHint : 1
; COMPUTE_PGM_RSRC2:SCRATCH_EN: 0
; COMPUTE_PGM_RSRC2:USER_SGPR: 2
; COMPUTE_PGM_RSRC2:TRAP_HANDLER: 0
; COMPUTE_PGM_RSRC2:TGID_X_EN: 1
; COMPUTE_PGM_RSRC2:TGID_Y_EN: 0
; COMPUTE_PGM_RSRC2:TGID_Z_EN: 0
; COMPUTE_PGM_RSRC2:TIDIG_COMP_CNT: 0
	.text
	.p2alignl 7, 3214868480
	.fill 96, 4, 3214868480
	.type	__hip_cuid_21bc19c1b1b8672f,@object ; @__hip_cuid_21bc19c1b1b8672f
	.section	.bss,"aw",@nobits
	.globl	__hip_cuid_21bc19c1b1b8672f
__hip_cuid_21bc19c1b1b8672f:
	.byte	0                               ; 0x0
	.size	__hip_cuid_21bc19c1b1b8672f, 1

	.ident	"AMD clang version 19.0.0git (https://github.com/RadeonOpenCompute/llvm-project roc-6.4.0 25133 c7fe45cf4b819c5991fe208aaa96edf142730f1d)"
	.section	".note.GNU-stack","",@progbits
	.addrsig
	.addrsig_sym __hip_cuid_21bc19c1b1b8672f
	.amdgpu_metadata
---
amdhsa.kernels:
  - .args:
      - .actual_access:  read_only
        .address_space:  global
        .offset:         0
        .size:           8
        .value_kind:     global_buffer
      - .offset:         8
        .size:           8
        .value_kind:     by_value
      - .actual_access:  read_only
        .address_space:  global
        .offset:         16
        .size:           8
        .value_kind:     global_buffer
      - .actual_access:  read_only
        .address_space:  global
        .offset:         24
        .size:           8
        .value_kind:     global_buffer
      - .actual_access:  read_only
        .address_space:  global
        .offset:         32
        .size:           8
        .value_kind:     global_buffer
      - .offset:         40
        .size:           8
        .value_kind:     by_value
      - .actual_access:  read_only
        .address_space:  global
        .offset:         48
        .size:           8
        .value_kind:     global_buffer
      - .actual_access:  read_only
        .address_space:  global
        .offset:         56
        .size:           8
        .value_kind:     global_buffer
      - .offset:         64
        .size:           4
        .value_kind:     by_value
      - .actual_access:  read_only
        .address_space:  global
        .offset:         72
        .size:           8
        .value_kind:     global_buffer
      - .actual_access:  read_only
        .address_space:  global
        .offset:         80
        .size:           8
        .value_kind:     global_buffer
      - .actual_access:  read_only
        .address_space:  global
        .offset:         88
        .size:           8
        .value_kind:     global_buffer
      - .actual_access:  write_only
        .address_space:  global
        .offset:         96
        .size:           8
        .value_kind:     global_buffer
    .group_segment_fixed_size: 0
    .kernarg_segment_align: 8
    .kernarg_segment_size: 104
    .language:       OpenCL C
    .language_version:
      - 2
      - 0
    .max_flat_workgroup_size: 182
    .name:           fft_rtc_fwd_len1001_factors_13_7_11_wgs_182_tpt_91_halfLds_dp_op_CI_CI_unitstride_sbrr_dirReg
    .private_segment_fixed_size: 0
    .sgpr_count:     46
    .sgpr_spill_count: 0
    .symbol:         fft_rtc_fwd_len1001_factors_13_7_11_wgs_182_tpt_91_halfLds_dp_op_CI_CI_unitstride_sbrr_dirReg.kd
    .uniform_work_group_size: 1
    .uses_dynamic_stack: false
    .vgpr_count:     187
    .vgpr_spill_count: 0
    .wavefront_size: 32
    .workgroup_processor_mode: 1
amdhsa.target:   amdgcn-amd-amdhsa--gfx1201
amdhsa.version:
  - 1
  - 2
...

	.end_amdgpu_metadata
